;; amdgpu-corpus repo=ROCm/rocFFT kind=compiled arch=gfx1201 opt=O3
	.text
	.amdgcn_target "amdgcn-amd-amdhsa--gfx1201"
	.amdhsa_code_object_version 6
	.protected	fft_rtc_back_len1248_factors_2_2_13_2_3_2_2_wgs_52_tpt_52_halfLds_half_ip_CI_unitstride_sbrr_dirReg ; -- Begin function fft_rtc_back_len1248_factors_2_2_13_2_3_2_2_wgs_52_tpt_52_halfLds_half_ip_CI_unitstride_sbrr_dirReg
	.globl	fft_rtc_back_len1248_factors_2_2_13_2_3_2_2_wgs_52_tpt_52_halfLds_half_ip_CI_unitstride_sbrr_dirReg
	.p2align	8
	.type	fft_rtc_back_len1248_factors_2_2_13_2_3_2_2_wgs_52_tpt_52_halfLds_half_ip_CI_unitstride_sbrr_dirReg,@function
fft_rtc_back_len1248_factors_2_2_13_2_3_2_2_wgs_52_tpt_52_halfLds_half_ip_CI_unitstride_sbrr_dirReg: ; @fft_rtc_back_len1248_factors_2_2_13_2_3_2_2_wgs_52_tpt_52_halfLds_half_ip_CI_unitstride_sbrr_dirReg
; %bb.0:
	s_clause 0x2
	s_load_b128 s[4:7], s[0:1], 0x0
	s_load_b64 s[8:9], s[0:1], 0x50
	s_load_b64 s[10:11], s[0:1], 0x18
	v_mul_u32_u24_e32 v1, 0x4ed, v0
	v_mov_b32_e32 v3, 0
	s_delay_alu instid0(VALU_DEP_2) | instskip(NEXT) | instid1(VALU_DEP_1)
	v_lshrrev_b32_e32 v1, 16, v1
	v_add_nc_u32_e32 v5, ttmp9, v1
	v_mov_b32_e32 v1, 0
	v_mov_b32_e32 v2, 0
	;; [unrolled: 1-line block ×3, first 2 shown]
	s_wait_kmcnt 0x0
	v_cmp_lt_u64_e64 s2, s[6:7], 2
	s_delay_alu instid0(VALU_DEP_1)
	s_and_b32 vcc_lo, exec_lo, s2
	s_cbranch_vccnz .LBB0_8
; %bb.1:
	s_load_b64 s[2:3], s[0:1], 0x10
	v_mov_b32_e32 v1, 0
	v_mov_b32_e32 v2, 0
	s_add_nc_u64 s[12:13], s[10:11], 8
	s_mov_b64 s[14:15], 1
	s_wait_kmcnt 0x0
	s_add_nc_u64 s[16:17], s[2:3], 8
	s_mov_b32 s3, 0
.LBB0_2:                                ; =>This Inner Loop Header: Depth=1
	s_load_b64 s[18:19], s[16:17], 0x0
                                        ; implicit-def: $vgpr7_vgpr8
	s_mov_b32 s2, exec_lo
	s_wait_kmcnt 0x0
	v_or_b32_e32 v4, s19, v6
	s_delay_alu instid0(VALU_DEP_1)
	v_cmpx_ne_u64_e32 0, v[3:4]
	s_wait_alu 0xfffe
	s_xor_b32 s20, exec_lo, s2
	s_cbranch_execz .LBB0_4
; %bb.3:                                ;   in Loop: Header=BB0_2 Depth=1
	s_cvt_f32_u32 s2, s18
	s_cvt_f32_u32 s21, s19
	s_sub_nc_u64 s[24:25], 0, s[18:19]
	s_wait_alu 0xfffe
	s_delay_alu instid0(SALU_CYCLE_1) | instskip(SKIP_1) | instid1(SALU_CYCLE_2)
	s_fmamk_f32 s2, s21, 0x4f800000, s2
	s_wait_alu 0xfffe
	v_s_rcp_f32 s2, s2
	s_delay_alu instid0(TRANS32_DEP_1) | instskip(SKIP_1) | instid1(SALU_CYCLE_2)
	s_mul_f32 s2, s2, 0x5f7ffffc
	s_wait_alu 0xfffe
	s_mul_f32 s21, s2, 0x2f800000
	s_wait_alu 0xfffe
	s_delay_alu instid0(SALU_CYCLE_2) | instskip(SKIP_1) | instid1(SALU_CYCLE_2)
	s_trunc_f32 s21, s21
	s_wait_alu 0xfffe
	s_fmamk_f32 s2, s21, 0xcf800000, s2
	s_cvt_u32_f32 s23, s21
	s_wait_alu 0xfffe
	s_delay_alu instid0(SALU_CYCLE_1) | instskip(SKIP_1) | instid1(SALU_CYCLE_2)
	s_cvt_u32_f32 s22, s2
	s_wait_alu 0xfffe
	s_mul_u64 s[26:27], s[24:25], s[22:23]
	s_wait_alu 0xfffe
	s_mul_hi_u32 s29, s22, s27
	s_mul_i32 s28, s22, s27
	s_mul_hi_u32 s2, s22, s26
	s_mul_i32 s30, s23, s26
	s_wait_alu 0xfffe
	s_add_nc_u64 s[28:29], s[2:3], s[28:29]
	s_mul_hi_u32 s21, s23, s26
	s_mul_hi_u32 s31, s23, s27
	s_add_co_u32 s2, s28, s30
	s_wait_alu 0xfffe
	s_add_co_ci_u32 s2, s29, s21
	s_mul_i32 s26, s23, s27
	s_add_co_ci_u32 s27, s31, 0
	s_wait_alu 0xfffe
	s_add_nc_u64 s[26:27], s[2:3], s[26:27]
	s_wait_alu 0xfffe
	v_add_co_u32 v4, s2, s22, s26
	s_delay_alu instid0(VALU_DEP_1) | instskip(SKIP_1) | instid1(VALU_DEP_1)
	s_cmp_lg_u32 s2, 0
	s_add_co_ci_u32 s23, s23, s27
	v_readfirstlane_b32 s22, v4
	s_wait_alu 0xfffe
	s_delay_alu instid0(VALU_DEP_1)
	s_mul_u64 s[24:25], s[24:25], s[22:23]
	s_wait_alu 0xfffe
	s_mul_hi_u32 s27, s22, s25
	s_mul_i32 s26, s22, s25
	s_mul_hi_u32 s2, s22, s24
	s_mul_i32 s28, s23, s24
	s_wait_alu 0xfffe
	s_add_nc_u64 s[26:27], s[2:3], s[26:27]
	s_mul_hi_u32 s21, s23, s24
	s_mul_hi_u32 s22, s23, s25
	s_wait_alu 0xfffe
	s_add_co_u32 s2, s26, s28
	s_add_co_ci_u32 s2, s27, s21
	s_mul_i32 s24, s23, s25
	s_add_co_ci_u32 s25, s22, 0
	s_wait_alu 0xfffe
	s_add_nc_u64 s[24:25], s[2:3], s[24:25]
	s_wait_alu 0xfffe
	v_add_co_u32 v4, s2, v4, s24
	s_delay_alu instid0(VALU_DEP_1) | instskip(SKIP_1) | instid1(VALU_DEP_1)
	s_cmp_lg_u32 s2, 0
	s_add_co_ci_u32 s2, s23, s25
	v_mul_hi_u32 v13, v5, v4
	s_wait_alu 0xfffe
	v_mad_co_u64_u32 v[7:8], null, v5, s2, 0
	v_mad_co_u64_u32 v[9:10], null, v6, v4, 0
	;; [unrolled: 1-line block ×3, first 2 shown]
	s_delay_alu instid0(VALU_DEP_3) | instskip(SKIP_1) | instid1(VALU_DEP_4)
	v_add_co_u32 v4, vcc_lo, v13, v7
	s_wait_alu 0xfffd
	v_add_co_ci_u32_e32 v7, vcc_lo, 0, v8, vcc_lo
	s_delay_alu instid0(VALU_DEP_2) | instskip(SKIP_1) | instid1(VALU_DEP_2)
	v_add_co_u32 v4, vcc_lo, v4, v9
	s_wait_alu 0xfffd
	v_add_co_ci_u32_e32 v4, vcc_lo, v7, v10, vcc_lo
	s_wait_alu 0xfffd
	v_add_co_ci_u32_e32 v7, vcc_lo, 0, v12, vcc_lo
	s_delay_alu instid0(VALU_DEP_2) | instskip(SKIP_1) | instid1(VALU_DEP_2)
	v_add_co_u32 v4, vcc_lo, v4, v11
	s_wait_alu 0xfffd
	v_add_co_ci_u32_e32 v9, vcc_lo, 0, v7, vcc_lo
	s_delay_alu instid0(VALU_DEP_2) | instskip(SKIP_1) | instid1(VALU_DEP_3)
	v_mul_lo_u32 v10, s19, v4
	v_mad_co_u64_u32 v[7:8], null, s18, v4, 0
	v_mul_lo_u32 v11, s18, v9
	s_delay_alu instid0(VALU_DEP_2) | instskip(NEXT) | instid1(VALU_DEP_2)
	v_sub_co_u32 v7, vcc_lo, v5, v7
	v_add3_u32 v8, v8, v11, v10
	s_delay_alu instid0(VALU_DEP_1) | instskip(SKIP_1) | instid1(VALU_DEP_1)
	v_sub_nc_u32_e32 v10, v6, v8
	s_wait_alu 0xfffd
	v_subrev_co_ci_u32_e64 v10, s2, s19, v10, vcc_lo
	v_add_co_u32 v11, s2, v4, 2
	s_wait_alu 0xf1ff
	v_add_co_ci_u32_e64 v12, s2, 0, v9, s2
	v_sub_co_u32 v13, s2, v7, s18
	v_sub_co_ci_u32_e32 v8, vcc_lo, v6, v8, vcc_lo
	s_wait_alu 0xf1ff
	v_subrev_co_ci_u32_e64 v10, s2, 0, v10, s2
	s_delay_alu instid0(VALU_DEP_3) | instskip(NEXT) | instid1(VALU_DEP_3)
	v_cmp_le_u32_e32 vcc_lo, s18, v13
	v_cmp_eq_u32_e64 s2, s19, v8
	s_wait_alu 0xfffd
	v_cndmask_b32_e64 v13, 0, -1, vcc_lo
	v_cmp_le_u32_e32 vcc_lo, s19, v10
	s_wait_alu 0xfffd
	v_cndmask_b32_e64 v14, 0, -1, vcc_lo
	v_cmp_le_u32_e32 vcc_lo, s18, v7
	;; [unrolled: 3-line block ×3, first 2 shown]
	s_wait_alu 0xfffd
	v_cndmask_b32_e64 v15, 0, -1, vcc_lo
	v_cmp_eq_u32_e32 vcc_lo, s19, v10
	s_wait_alu 0xf1ff
	s_delay_alu instid0(VALU_DEP_2)
	v_cndmask_b32_e64 v7, v15, v7, s2
	s_wait_alu 0xfffd
	v_cndmask_b32_e32 v10, v14, v13, vcc_lo
	v_add_co_u32 v13, vcc_lo, v4, 1
	s_wait_alu 0xfffd
	v_add_co_ci_u32_e32 v14, vcc_lo, 0, v9, vcc_lo
	s_delay_alu instid0(VALU_DEP_3) | instskip(SKIP_2) | instid1(VALU_DEP_3)
	v_cmp_ne_u32_e32 vcc_lo, 0, v10
	s_wait_alu 0xfffd
	v_cndmask_b32_e32 v10, v13, v11, vcc_lo
	v_cndmask_b32_e32 v8, v14, v12, vcc_lo
	v_cmp_ne_u32_e32 vcc_lo, 0, v7
	s_wait_alu 0xfffd
	s_delay_alu instid0(VALU_DEP_2)
	v_dual_cndmask_b32 v7, v4, v10 :: v_dual_cndmask_b32 v8, v9, v8
.LBB0_4:                                ;   in Loop: Header=BB0_2 Depth=1
	s_wait_alu 0xfffe
	s_and_not1_saveexec_b32 s2, s20
	s_cbranch_execz .LBB0_6
; %bb.5:                                ;   in Loop: Header=BB0_2 Depth=1
	v_cvt_f32_u32_e32 v4, s18
	s_sub_co_i32 s20, 0, s18
	s_delay_alu instid0(VALU_DEP_1) | instskip(NEXT) | instid1(TRANS32_DEP_1)
	v_rcp_iflag_f32_e32 v4, v4
	v_mul_f32_e32 v4, 0x4f7ffffe, v4
	s_delay_alu instid0(VALU_DEP_1) | instskip(SKIP_1) | instid1(VALU_DEP_1)
	v_cvt_u32_f32_e32 v4, v4
	s_wait_alu 0xfffe
	v_mul_lo_u32 v7, s20, v4
	s_delay_alu instid0(VALU_DEP_1) | instskip(NEXT) | instid1(VALU_DEP_1)
	v_mul_hi_u32 v7, v4, v7
	v_add_nc_u32_e32 v4, v4, v7
	s_delay_alu instid0(VALU_DEP_1) | instskip(NEXT) | instid1(VALU_DEP_1)
	v_mul_hi_u32 v4, v5, v4
	v_mul_lo_u32 v7, v4, s18
	v_add_nc_u32_e32 v8, 1, v4
	s_delay_alu instid0(VALU_DEP_2) | instskip(NEXT) | instid1(VALU_DEP_1)
	v_sub_nc_u32_e32 v7, v5, v7
	v_subrev_nc_u32_e32 v9, s18, v7
	v_cmp_le_u32_e32 vcc_lo, s18, v7
	s_wait_alu 0xfffd
	s_delay_alu instid0(VALU_DEP_2) | instskip(NEXT) | instid1(VALU_DEP_1)
	v_dual_cndmask_b32 v7, v7, v9 :: v_dual_cndmask_b32 v4, v4, v8
	v_cmp_le_u32_e32 vcc_lo, s18, v7
	s_delay_alu instid0(VALU_DEP_2) | instskip(SKIP_1) | instid1(VALU_DEP_1)
	v_add_nc_u32_e32 v8, 1, v4
	s_wait_alu 0xfffd
	v_dual_cndmask_b32 v7, v4, v8 :: v_dual_mov_b32 v8, v3
.LBB0_6:                                ;   in Loop: Header=BB0_2 Depth=1
	s_wait_alu 0xfffe
	s_or_b32 exec_lo, exec_lo, s2
	s_load_b64 s[20:21], s[12:13], 0x0
	s_delay_alu instid0(VALU_DEP_1)
	v_mul_lo_u32 v4, v8, s18
	v_mul_lo_u32 v11, v7, s19
	v_mad_co_u64_u32 v[9:10], null, v7, s18, 0
	s_add_nc_u64 s[14:15], s[14:15], 1
	s_add_nc_u64 s[12:13], s[12:13], 8
	s_wait_alu 0xfffe
	v_cmp_ge_u64_e64 s2, s[14:15], s[6:7]
	s_add_nc_u64 s[16:17], s[16:17], 8
	s_delay_alu instid0(VALU_DEP_2) | instskip(NEXT) | instid1(VALU_DEP_3)
	v_add3_u32 v4, v10, v11, v4
	v_sub_co_u32 v5, vcc_lo, v5, v9
	s_wait_alu 0xfffd
	s_delay_alu instid0(VALU_DEP_2) | instskip(SKIP_3) | instid1(VALU_DEP_2)
	v_sub_co_ci_u32_e32 v4, vcc_lo, v6, v4, vcc_lo
	s_and_b32 vcc_lo, exec_lo, s2
	s_wait_kmcnt 0x0
	v_mul_lo_u32 v6, s21, v5
	v_mul_lo_u32 v4, s20, v4
	v_mad_co_u64_u32 v[1:2], null, s20, v5, v[1:2]
	s_delay_alu instid0(VALU_DEP_1)
	v_add3_u32 v2, v6, v2, v4
	s_wait_alu 0xfffe
	s_cbranch_vccnz .LBB0_9
; %bb.7:                                ;   in Loop: Header=BB0_2 Depth=1
	v_dual_mov_b32 v5, v7 :: v_dual_mov_b32 v6, v8
	s_branch .LBB0_2
.LBB0_8:
	v_dual_mov_b32 v8, v6 :: v_dual_mov_b32 v7, v5
.LBB0_9:
	s_lshl_b64 s[2:3], s[6:7], 3
	v_mul_hi_u32 v3, 0x4ec4ec5, v0
	s_wait_alu 0xfffe
	s_add_nc_u64 s[2:3], s[10:11], s[2:3]
	v_dual_mov_b32 v10, 0 :: v_dual_mov_b32 v29, 0
	s_load_b64 s[2:3], s[2:3], 0x0
	s_load_b64 s[0:1], s[0:1], 0x20
	v_dual_mov_b32 v28, 0 :: v_dual_mov_b32 v23, 0
	v_dual_mov_b32 v24, 0 :: v_dual_mov_b32 v5, 0
	v_mov_b32_e32 v22, 0
	v_mov_b32_e32 v16, 0
                                        ; implicit-def: $vgpr36
                                        ; implicit-def: $vgpr19
                                        ; implicit-def: $vgpr38
                                        ; implicit-def: $vgpr20
                                        ; implicit-def: $vgpr37
                                        ; implicit-def: $vgpr21
                                        ; implicit-def: $vgpr35
                                        ; implicit-def: $vgpr17
                                        ; implicit-def: $vgpr34
                                        ; implicit-def: $vgpr18
                                        ; implicit-def: $vgpr33
                                        ; implicit-def: $vgpr11
                                        ; implicit-def: $vgpr32
                                        ; implicit-def: $vgpr31
                                        ; implicit-def: $vgpr30
                                        ; implicit-def: $vgpr9
                                        ; implicit-def: $vgpr27
                                        ; implicit-def: $vgpr25
                                        ; implicit-def: $vgpr26
	s_wait_kmcnt 0x0
	v_mul_lo_u32 v4, s2, v8
	v_mul_lo_u32 v6, s3, v7
	v_mad_co_u64_u32 v[13:14], null, s2, v7, v[1:2]
	v_mul_u32_u24_e32 v1, 52, v3
	v_cmp_gt_u64_e32 vcc_lo, s[0:1], v[7:8]
	v_mov_b32_e32 v2, 0
                                        ; implicit-def: $vgpr8
                                        ; implicit-def: $vgpr7
                                        ; implicit-def: $vgpr3
	s_delay_alu instid0(VALU_DEP_3) | instskip(SKIP_4) | instid1(VALU_DEP_3)
	v_sub_nc_u32_e32 v12, v0, v1
	v_mov_b32_e32 v1, 0
	v_add3_u32 v14, v6, v14, v4
	v_mov_b32_e32 v4, 0
	v_mov_b32_e32 v0, 0
                                        ; implicit-def: $vgpr6
	v_lshlrev_b64_e32 v[14:15], 2, v[13:14]
                                        ; implicit-def: $vgpr13
	s_and_saveexec_b32 s1, vcc_lo
	s_cbranch_execz .LBB0_11
; %bb.10:
	v_mov_b32_e32 v13, 0
	s_delay_alu instid0(VALU_DEP_2) | instskip(SKIP_2) | instid1(VALU_DEP_3)
	v_add_co_u32 v2, s0, s8, v14
	s_wait_alu 0xf1ff
	v_add_co_ci_u32_e64 v3, s0, s9, v15, s0
	v_lshlrev_b64_e32 v[0:1], 2, v[12:13]
	s_delay_alu instid0(VALU_DEP_1) | instskip(SKIP_1) | instid1(VALU_DEP_2)
	v_add_co_u32 v25, s0, v2, v0
	s_wait_alu 0xf1ff
	v_add_co_ci_u32_e64 v26, s0, v3, v1, s0
	s_clause 0x17
	global_load_b32 v19, v[25:26], off offset:2496
	global_load_b32 v20, v[25:26], off offset:2704
	;; [unrolled: 1-line block ×12, first 2 shown]
	global_load_b32 v10, v[25:26], off
	global_load_b32 v29, v[25:26], off offset:208
	global_load_b32 v28, v[25:26], off offset:416
	;; [unrolled: 1-line block ×11, first 2 shown]
	s_wait_loadcnt 0x17
	v_lshrrev_b32_e32 v36, 16, v19
	s_wait_loadcnt 0x16
	v_lshrrev_b32_e32 v38, 16, v20
	;; [unrolled: 2-line block ×12, first 2 shown]
.LBB0_11:
	s_wait_alu 0xfffe
	s_or_b32 exec_lo, exec_lo, s1
	s_wait_loadcnt 0xb
	v_sub_f16_e32 v40, v10, v19
	s_wait_loadcnt 0xa
	v_lshrrev_b32_e32 v19, 16, v29
	s_wait_loadcnt 0x8
	v_sub_f16_e32 v17, v24, v17
	s_wait_loadcnt 0x5
	v_sub_f16_e32 v13, v16, v13
	v_sub_f16_e32 v21, v28, v21
	v_lshrrev_b32_e32 v41, 16, v28
	v_sub_f16_e32 v38, v19, v38
	v_fma_f16 v44, v24, 2.0, -v17
	v_fma_f16 v49, v16, 2.0, -v13
	;; [unrolled: 1-line block ×3, first 2 shown]
	v_lshrrev_b32_e32 v28, 16, v23
	v_fma_f16 v42, v19, 2.0, -v38
	v_lshrrev_b32_e32 v19, 16, v24
	v_lshrrev_b32_e32 v24, 16, v22
	;; [unrolled: 1-line block ×3, first 2 shown]
	v_sub_f16_e32 v20, v29, v20
	v_sub_f16_e32 v18, v23, v18
	;; [unrolled: 1-line block ×7, first 2 shown]
	v_fma_f16 v45, v19, 2.0, -v35
	v_lshrrev_b32_e32 v19, 16, v16
	v_fma_f16 v47, v24, 2.0, -v33
	s_wait_loadcnt 0x4
	v_lshrrev_b32_e32 v24, 16, v5
	s_wait_loadcnt 0x3
	v_lshrrev_b32_e32 v16, 16, v4
	v_fma_f16 v10, v10, 2.0, -v40
	v_sub_f16_e32 v48, v19, v32
	v_fma_f16 v29, v29, 2.0, -v20
	v_sub_f16_e32 v31, v24, v31
	v_sub_f16_e32 v30, v16, v30
	v_fma_f16 v23, v23, 2.0, -v18
	v_fma_f16 v50, v19, 2.0, -v48
	s_wait_loadcnt 0x2
	v_lshrrev_b32_e32 v19, 16, v2
	v_fma_f16 v51, v24, 2.0, -v31
	s_wait_loadcnt 0x0
	v_lshrrev_b32_e32 v24, 16, v1
	v_fma_f16 v52, v16, 2.0, -v30
	v_lshrrev_b32_e32 v16, 16, v0
	v_sub_f16_e32 v53, v19, v27
	v_fma_f16 v22, v22, 2.0, -v11
	v_sub_f16_e32 v55, v24, v26
	v_sub_f16_e32 v8, v5, v8
	;; [unrolled: 1-line block ×7, first 2 shown]
	v_add_nc_u32_e32 v32, 52, v12
	v_sub_f16_e32 v37, v41, v37
	v_fma_f16 v56, v19, 2.0, -v53
	v_add_nc_u32_e32 v19, 0x68, v12
	v_fma_f16 v46, v28, 2.0, -v34
	v_add_nc_u32_e32 v28, 0x9c, v12
	;; [unrolled: 2-line block ×3, first 2 shown]
	v_fma_f16 v39, v39, 2.0, -v36
	v_fma_f16 v5, v5, 2.0, -v8
	;; [unrolled: 1-line block ×7, first 2 shown]
	v_lshlrev_b32_e32 v16, 1, v12
	v_lshl_add_u32 v59, v12, 2, 0
	v_pack_b32_f16 v10, v10, v40
	v_pack_b32_f16 v29, v29, v20
	v_add_nc_u32_e32 v25, 0x104, v12
	v_pack_b32_f16 v44, v44, v17
	v_add_nc_u32_e32 v26, 0x138, v12
	;; [unrolled: 2-line block ×4, first 2 shown]
	v_add_nc_u32_e32 v23, 0x1d4, v12
	v_add_nc_u32_e32 v22, 0x208, v12
	;; [unrolled: 1-line block ×3, first 2 shown]
	v_lshl_add_u32 v40, v32, 2, 0
	v_fma_f16 v41, v41, 2.0, -v37
	v_lshl_add_u32 v60, v19, 2, 0
	v_pack_b32_f16 v21, v43, v21
	v_lshl_add_u32 v43, v28, 2, 0
	v_lshl_add_u32 v61, v24, 2, 0
	v_pack_b32_f16 v13, v49, v13
	v_lshl_add_u32 v62, v25, 2, 0
	v_lshl_add_u32 v63, v26, 2, 0
	;; [unrolled: 1-line block ×3, first 2 shown]
	v_pack_b32_f16 v5, v5, v8
	v_lshl_add_u32 v64, v17, 2, 0
	v_pack_b32_f16 v4, v4, v9
	v_lshl_add_u32 v65, v23, 2, 0
	;; [unrolled: 2-line block ×4, first 2 shown]
	v_pack_b32_f16 v1, v1, v6
	ds_store_b32 v59, v10
	ds_store_b32 v40, v29
	ds_store_b32 v60, v21
	ds_store_b32 v43, v44
	ds_store_b32 v61, v18
	ds_store_b32 v62, v11
	ds_store_b32 v63, v13
	ds_store_b32 v49, v5
	ds_store_b32 v64, v4
	ds_store_b32 v65, v2
	ds_store_b32 v66, v0
	ds_store_b32 v67, v1
	v_add_nc_u32_e32 v21, 0, v16
	v_pack_b32_f16 v13, v39, v36
	v_pack_b32_f16 v18, v42, v38
	;; [unrolled: 1-line block ×6, first 2 shown]
	global_wb scope:SCOPE_SE
	s_wait_dscnt 0x0
	s_barrier_signal -1
	s_barrier_wait -1
	global_inv scope:SCOPE_SE
	ds_load_u16 v0, v21 offset:1456
	ds_load_u16 v1, v21 offset:1560
	ds_load_u16 v68, v21
	ds_load_u16 v69, v21 offset:104
	ds_load_u16 v71, v21 offset:208
	;; [unrolled: 1-line block ×21, first 2 shown]
	global_wb scope:SCOPE_SE
	s_wait_dscnt 0x0
	s_barrier_signal -1
	s_barrier_wait -1
	global_inv scope:SCOPE_SE
	v_pack_b32_f16 v36, v50, v48
	v_pack_b32_f16 v31, v51, v31
	ds_store_b32 v59, v13
	ds_store_b32 v40, v18
	;; [unrolled: 1-line block ×8, first 2 shown]
	v_pack_b32_f16 v13, v52, v30
	v_and_b32_e32 v33, 1, v12
	v_pack_b32_f16 v18, v56, v53
	v_pack_b32_f16 v29, v57, v54
	;; [unrolled: 1-line block ×3, first 2 shown]
	ds_store_b32 v64, v13
	ds_store_b32 v65, v18
	;; [unrolled: 1-line block ×4, first 2 shown]
	v_lshlrev_b32_e32 v13, 2, v33
	global_wb scope:SCOPE_SE
	s_wait_dscnt 0x0
	s_barrier_signal -1
	s_barrier_wait -1
	global_inv scope:SCOPE_SE
	global_load_b32 v13, v13, s[4:5]
	v_lshlrev_b32_e32 v29, 1, v19
	v_lshlrev_b32_e32 v36, 1, v26
	;; [unrolled: 1-line block ×5, first 2 shown]
	v_and_or_b32 v29, 0x1fc, v29, v33
	v_and_or_b32 v36, 0x2fc, v36, v33
	;; [unrolled: 1-line block ×3, first 2 shown]
	v_lshlrev_b32_e32 v39, 1, v23
	v_lshlrev_b32_e32 v18, 1, v32
	v_lshl_add_u32 v44, v29, 1, 0
	v_lshl_add_u32 v38, v36, 1, 0
	;; [unrolled: 1-line block ×3, first 2 shown]
	ds_load_u16 v88, v21 offset:1248
	ds_load_u16 v89, v21 offset:1352
	;; [unrolled: 1-line block ×4, first 2 shown]
	ds_load_u16 v29, v21
	ds_load_u16 v79, v21 offset:104
	ds_load_u16 v70, v21 offset:208
	;; [unrolled: 1-line block ×19, first 2 shown]
	v_lshlrev_b32_e32 v34, 1, v24
	v_lshlrev_b32_e32 v40, 1, v22
	v_and_or_b32 v30, 0x1fc, v30, v33
	v_and_or_b32 v35, 0x2fc, v35, v33
	;; [unrolled: 1-line block ×3, first 2 shown]
	v_lshlrev_b32_e32 v37, 1, v27
	v_lshlrev_b32_e32 v41, 1, v20
	v_and_or_b32 v42, 0xfc, v18, v33
	v_and_or_b32 v34, 0x3fc, v34, v33
	;; [unrolled: 1-line block ×3, first 2 shown]
	v_lshl_add_u32 v43, v30, 1, 0
	v_lshl_add_u32 v40, v35, 1, 0
	;; [unrolled: 1-line block ×3, first 2 shown]
	v_and_or_b32 v31, 0x7c, v16, v33
	v_and_or_b32 v37, 0x3fc, v37, v33
	;; [unrolled: 1-line block ×3, first 2 shown]
	v_lshl_add_u32 v45, v42, 1, 0
	v_lshl_add_u32 v41, v34, 1, 0
	v_lshl_add_u32 v34, v47, 1, 0
	v_lshl_add_u32 v31, v31, 1, 0
	v_lshl_add_u32 v37, v37, 1, 0
	v_lshl_add_u32 v33, v33, 1, 0
	global_wb scope:SCOPE_SE
	s_wait_loadcnt_dscnt 0x0
	s_barrier_signal -1
	s_barrier_wait -1
	global_inv scope:SCOPE_SE
	v_cmp_gt_u32_e64 s0, 44, v12
	v_lshrrev_b32_e32 v92, 16, v13
	s_delay_alu instid0(VALU_DEP_1)
	v_mul_f16_e32 v30, v88, v92
	v_mul_f16_e32 v39, v89, v92
	;; [unrolled: 1-line block ×12, first 2 shown]
	v_fmac_f16_e32 v30, v11, v13
	v_fmac_f16_e32 v39, v10, v13
	;; [unrolled: 1-line block ×12, first 2 shown]
	v_sub_f16_e32 v60, v68, v30
	v_sub_f16_e32 v61, v69, v39
	;; [unrolled: 1-line block ×12, first 2 shown]
	v_fma_f16 v53, v68, 2.0, -v60
	v_fma_f16 v66, v69, 2.0, -v61
	;; [unrolled: 1-line block ×12, first 2 shown]
	ds_store_b16 v31, v53
	ds_store_b16 v31, v60 offset:4
	ds_store_b16 v45, v66
	ds_store_b16 v45, v61 offset:4
	;; [unrolled: 2-line block ×12, first 2 shown]
	global_wb scope:SCOPE_SE
	s_wait_dscnt 0x0
	s_barrier_signal -1
	s_barrier_wait -1
	global_inv scope:SCOPE_SE
	ds_load_u16 v47, v21
	ds_load_u16 v74, v21 offset:192
	ds_load_u16 v73, v21 offset:384
	;; [unrolled: 1-line block ×12, first 2 shown]
                                        ; implicit-def: $vgpr65
                                        ; implicit-def: $vgpr68
	s_and_saveexec_b32 s1, s0
	s_cbranch_execz .LBB0_13
; %bb.12:
	ds_load_u16 v30, v21 offset:104
	ds_load_u16 v48, v21 offset:296
	ds_load_u16 v42, v21 offset:488
	ds_load_u16 v59, v21 offset:680
	ds_load_u16 v39, v21 offset:872
	ds_load_u16 v58, v21 offset:1064
	ds_load_u16 v52, v21 offset:1256
	ds_load_u16 v57, v21 offset:1448
	ds_load_u16 v51, v21 offset:1640
	ds_load_u16 v56, v21 offset:1832
	ds_load_u16 v50, v21 offset:2024
	ds_load_u16 v68, v21 offset:2216
	ds_load_u16 v65, v21 offset:2408
.LBB0_13:
	s_wait_alu 0xfffe
	s_or_b32 exec_lo, exec_lo, s1
	v_mul_f16_e32 v11, v11, v92
	v_mul_f16_e32 v10, v10, v92
	;; [unrolled: 1-line block ×5, first 2 shown]
	v_fma_f16 v11, v88, v13, -v11
	v_mul_f16_e32 v8, v8, v92
	v_mul_f16_e32 v7, v7, v92
	v_fma_f16 v10, v89, v13, -v10
	v_fma_f16 v0, v90, v13, -v0
	;; [unrolled: 1-line block ×3, first 2 shown]
	v_mul_f16_e32 v6, v6, v92
	v_mul_f16_e32 v5, v5, v92
	v_fma_f16 v9, v83, v13, -v9
	v_fma_f16 v8, v84, v13, -v8
	;; [unrolled: 1-line block ×3, first 2 shown]
	v_mul_f16_e32 v4, v4, v92
	v_mul_f16_e32 v3, v3, v92
	;; [unrolled: 1-line block ×3, first 2 shown]
	v_sub_f16_e32 v11, v29, v11
	v_fma_f16 v6, v86, v13, -v6
	v_fma_f16 v5, v87, v13, -v5
	v_sub_f16_e32 v10, v79, v10
	v_fma_f16 v4, v80, v13, -v4
	v_fma_f16 v3, v81, v13, -v3
	;; [unrolled: 1-line block ×3, first 2 shown]
	v_fma_f16 v13, v29, 2.0, -v11
	v_sub_f16_e32 v0, v70, v0
	v_sub_f16_e32 v1, v75, v1
	;; [unrolled: 1-line block ×5, first 2 shown]
	v_fma_f16 v82, v79, 2.0, -v10
	v_fma_f16 v7, v70, 2.0, -v0
	;; [unrolled: 1-line block ×6, first 2 shown]
	v_sub_f16_e32 v77, v46, v6
	v_sub_f16_e32 v78, v49, v5
	;; [unrolled: 1-line block ×5, first 2 shown]
	v_fma_f16 v87, v46, 2.0, -v77
	v_fma_f16 v86, v49, 2.0, -v78
	;; [unrolled: 1-line block ×5, first 2 shown]
	global_wb scope:SCOPE_SE
	s_wait_dscnt 0x0
	s_barrier_signal -1
	s_barrier_wait -1
	global_inv scope:SCOPE_SE
	ds_store_b16 v31, v13
	ds_store_b16 v31, v11 offset:4
	ds_store_b16 v45, v82
	ds_store_b16 v45, v10 offset:4
	;; [unrolled: 2-line block ×12, first 2 shown]
	global_wb scope:SCOPE_SE
	s_wait_dscnt 0x0
	s_barrier_signal -1
	s_barrier_wait -1
	global_inv scope:SCOPE_SE
	ds_load_u16 v31, v21
	ds_load_u16 v102, v21 offset:192
	ds_load_u16 v101, v21 offset:384
	ds_load_u16 v100, v21 offset:576
	ds_load_u16 v99, v21 offset:768
	ds_load_u16 v98, v21 offset:960
	ds_load_u16 v97, v21 offset:1152
	ds_load_u16 v96, v21 offset:1344
	ds_load_u16 v95, v21 offset:1536
	ds_load_u16 v93, v21 offset:1728
	ds_load_u16 v92, v21 offset:1920
	ds_load_u16 v90, v21 offset:2112
	ds_load_u16 v89, v21 offset:2304
                                        ; implicit-def: $vgpr91
                                        ; implicit-def: $vgpr94
	s_and_saveexec_b32 s1, s0
	s_cbranch_execz .LBB0_15
; %bb.14:
	ds_load_u16 v29, v21 offset:104
	ds_load_u16 v87, v21 offset:296
	;; [unrolled: 1-line block ×13, first 2 shown]
.LBB0_15:
	s_wait_alu 0xfffe
	s_or_b32 exec_lo, exec_lo, s1
	v_and_b32_e32 v13, 3, v12
	v_lshrrev_b32_e32 v33, 2, v12
	v_lshrrev_b32_e32 v32, 2, v32
	s_delay_alu instid0(VALU_DEP_3) | instskip(NEXT) | instid1(VALU_DEP_3)
	v_mul_u32_u24_e32 v0, 12, v13
	v_mul_u32_u24_e32 v33, 52, v33
	s_delay_alu instid0(VALU_DEP_2) | instskip(NEXT) | instid1(VALU_DEP_2)
	v_lshlrev_b32_e32 v8, 2, v0
	v_or_b32_e32 v33, v33, v13
	s_clause 0x2
	global_load_b128 v[0:3], v8, s[4:5] offset:8
	global_load_b128 v[4:7], v8, s[4:5] offset:24
	;; [unrolled: 1-line block ×3, first 2 shown]
	v_lshl_add_u32 v45, v33, 1, 0
	global_wb scope:SCOPE_SE
	s_wait_loadcnt_dscnt 0x0
	s_barrier_signal -1
	s_barrier_wait -1
	global_inv scope:SCOPE_SE
	v_lshrrev_b32_e32 v33, 16, v0
	v_lshrrev_b32_e32 v34, 16, v1
	;; [unrolled: 1-line block ×12, first 2 shown]
	v_mul_f16_e32 v105, v102, v33
	v_mul_f16_e32 v111, v74, v33
	;; [unrolled: 1-line block ×32, first 2 shown]
	v_mul_f16_e64 v128, v52, v41
	v_mul_f16_e32 v34, v84, v44
	v_mul_f16_e64 v129, v57, v44
	v_mul_f16_e32 v36, v80, v49
	;; [unrolled: 2-line block ×3, first 2 shown]
	v_mul_f16_e32 v108, v50, v108
	v_mul_f16_e32 v44, v94, v109
	;; [unrolled: 1-line block ×4, first 2 shown]
	v_fmac_f16_e32 v105, v74, v0
	v_fma_f16 v102, v102, v0, -v111
	v_fmac_f16_e32 v103, v73, v1
	v_fma_f16 v74, v101, v1, -v112
	;; [unrolled: 2-line block ×11, first 2 shown]
	v_fma_f16 v62, v89, v11, -v122
	v_mul_f16_e32 v125, v59, v35
	v_mul_f16_e32 v35, v85, v38
	;; [unrolled: 1-line block ×6, first 2 shown]
	v_fmac_f16_e32 v106, v53, v11
	v_fmac_f16_e32 v46, v48, v0
	v_fma_f16 v53, v87, v0, -v123
	v_fmac_f16_e32 v43, v42, v1
	v_fma_f16 v48, v77, v1, -v124
	v_fmac_f16_e32 v40, v59, v2
	v_fmac_f16_e32 v33, v52, v5
	v_fma_f16 v0, v79, v5, -v128
	v_fmac_f16_e32 v34, v57, v6
	v_fma_f16 v1, v84, v6, -v129
	v_fmac_f16_e32 v36, v51, v7
	v_fmac_f16_e32 v41, v50, v9
	v_fma_f16 v5, v81, v9, -v108
	v_fmac_f16_e32 v44, v68, v10
	v_fmac_f16_e32 v49, v65, v11
	v_fma_f16 v6, v91, v11, -v110
	v_sub_f16_e32 v9, v102, v62
	v_sub_f16_e32 v11, v74, v73
	;; [unrolled: 1-line block ×6, first 2 shown]
	v_add_f16_e32 v68, v47, v105
	v_fma_f16 v42, v86, v2, -v125
	v_fmac_f16_e32 v37, v39, v3
	v_fma_f16 v39, v78, v3, -v126
	v_fmac_f16_e32 v35, v58, v4
	v_fma_f16 v2, v85, v4, -v127
	v_fma_f16 v3, v80, v7, -v130
	v_fmac_f16_e32 v38, v56, v8
	v_fma_f16 v4, v83, v8, -v107
	v_fma_f16 v7, v94, v10, -v109
	v_add_f16_e32 v8, v105, v106
	v_add_f16_e32 v10, v103, v104
	;; [unrolled: 1-line block ×6, first 2 shown]
	v_mul_f16_e32 v77, 0xb770, v9
	v_mul_f16_e32 v78, 0xba95, v9
	;; [unrolled: 1-line block ×36, first 2 shown]
	v_add_f16_e32 v68, v68, v103
	v_fmamk_f16 v114, v8, 0x3b15, v77
	v_fma_f16 v77, v8, 0x3b15, -v77
	v_fmamk_f16 v115, v8, 0x388b, v78
	v_fma_f16 v78, v8, 0x388b, -v78
	;; [unrolled: 2-line block ×16, first 2 shown]
	v_fma_f16 v128, 0x388b, v50, v93
	v_fma_f16 v93, v50, 0x388b, -v93
	v_fma_f16 v129, 0xb9fd, v50, v51
	v_fma_f16 v50, v50, 0xb9fd, -v51
	v_fmamk_f16 v51, v56, 0xb5ac, v94
	v_fma_f16 v94, v56, 0xb5ac, -v94
	v_fma_f16 v130, 0xb9fd, v56, v95
	v_fma_f16 v95, v56, 0xb9fd, -v95
	v_fma_f16 v131, 0x3b15, v56, v96
	v_fma_f16 v96, v56, 0x3b15, -v96
	v_fma_f16 v132, 0x2fb7, v56, v97
	v_fma_f16 v97, v56, 0x2fb7, -v97
	v_fma_f16 v133, 0xbbc4, v56, v98
	v_fma_f16 v98, v56, 0xbbc4, -v98
	v_fma_f16 v134, 0x388b, v56, v52
	v_fma_f16 v52, v56, 0x388b, -v52
	v_fmamk_f16 v56, v58, 0xb9fd, v99
	v_fma_f16 v99, v58, 0xb9fd, -v99
	v_fma_f16 v135, 0x2fb7, v58, v100
	v_fma_f16 v100, v58, 0x2fb7, -v100
	v_fma_f16 v136, 0x388b, v58, v101
	v_fma_f16 v101, v58, 0x388b, -v101
	v_fma_f16 v137, 0xbbc4, v58, v107
	v_fma_f16 v107, v58, 0xbbc4, -v107
	;; [unrolled: 12-line block ×3, first 2 shown]
	v_fma_f16 v143, 0xb5ac, v65, v113
	v_fma_f16 v113, v65, 0xb5ac, -v113
	v_fma_f16 v144, 0x2fb7, v65, v59
	v_fma_f16 v59, v65, 0x2fb7, -v59
	v_add_f16_e32 v65, v68, v82
	v_add_f16_e32 v68, v47, v114
	;; [unrolled: 1-line block ×38, first 2 shown]
	v_add_f16_e64 v80, v128, v84
	v_add_f16_e64 v83, v129, v85
	v_add_f16_e32 v81, v93, v81
	v_add_f16_e32 v8, v50, v8
	v_add_f16_e64 v47, v130, v47
	v_add_f16_e32 v10, v10, v76
	v_add_f16_e32 v9, v51, v9
	v_add_f16_e64 v51, v131, v68
	v_add_f16_e64 v68, v132, v78
	;; [unrolled: 1-line block ×4, first 2 shown]
	v_add_f16_e32 v11, v94, v11
	v_add_f16_e32 v50, v95, v65
	;; [unrolled: 1-line block ×6, first 2 shown]
	v_add_f16_e64 v47, v135, v47
	v_add_f16_e32 v10, v10, v88
	v_add_f16_e64 v51, v136, v51
	v_add_f16_e32 v9, v56, v9
	v_add_f16_e64 v56, v137, v68
	v_add_f16_e64 v68, v138, v78
	;; [unrolled: 1-line block ×3, first 2 shown]
	v_add_f16_e32 v11, v99, v11
	v_add_f16_e32 v50, v100, v50
	;; [unrolled: 1-line block ×6, first 2 shown]
	v_add_f16_e64 v47, v140, v47
	v_add_f16_e32 v10, v10, v104
	v_add_f16_e64 v51, v141, v51
	v_add_f16_e64 v56, v142, v56
	v_add_f16_e32 v9, v58, v9
	v_add_f16_e64 v58, v143, v68
	v_add_f16_e64 v68, v144, v78
	v_add_f16_e32 v11, v109, v11
	v_add_f16_e32 v50, v110, v50
	;; [unrolled: 1-line block ×7, first 2 shown]
	ds_store_b16 v45, v47 offset:16
	ds_store_b16 v45, v51 offset:24
	;; [unrolled: 1-line block ×7, first 2 shown]
	ds_store_b16 v45, v10
	ds_store_b16 v45, v65 offset:64
	ds_store_b16 v45, v57 offset:72
	;; [unrolled: 1-line block ×5, first 2 shown]
	s_and_saveexec_b32 s1, s0
	s_cbranch_execz .LBB0_17
; %bb.16:
	v_sub_f16_e32 v10, v53, v6
	v_add_f16_e32 v9, v46, v49
	v_sub_f16_e32 v47, v48, v7
	v_add_f16_e32 v11, v43, v44
	v_sub_f16_e32 v51, v42, v5
	v_mul_f16_e32 v68, 0xb3a8, v10
	v_add_f16_e32 v50, v40, v41
	v_mul_f16_e32 v77, 0x3770, v47
	v_sub_f16_e32 v56, v39, v4
	v_mul_f16_e32 v78, 0xb94e, v51
	v_fma_f16 v86, v9, 0xbbc4, -v68
	v_fmac_f16_e32 v68, 0xbbc4, v9
	v_fma_f16 v87, v11, 0x3b15, -v77
	v_mul_f16_e32 v83, 0xb94e, v10
	v_fma_f16 v89, v50, 0xb9fd, -v78
	v_add_f16_e32 v86, v30, v86
	v_fmac_f16_e32 v77, 0x3b15, v11
	v_add_f16_e32 v68, v30, v68
	v_add_f16_e32 v52, v37, v38
	v_sub_f16_e32 v58, v2, v3
	v_add_f16_e32 v86, v87, v86
	v_mul_f16_e32 v79, 0x3a95, v56
	v_mul_f16_e32 v84, 0x3bf1, v47
	v_fmac_f16_e32 v78, 0xb9fd, v50
	v_add_f16_e32 v68, v77, v68
	v_add_f16_e32 v77, v89, v86
	v_fma_f16 v86, v9, 0xb9fd, -v83
	v_add_f16_e32 v57, v35, v36
	v_mul_f16_e32 v80, 0xbb7b, v58
	v_mul_f16_e32 v85, 0xba95, v51
	v_fma_f16 v90, v52, 0x388b, -v79
	v_fmac_f16_e32 v79, 0x388b, v52
	v_fma_f16 v87, v11, 0x2fb7, -v84
	v_add_f16_e32 v68, v78, v68
	v_add_f16_e32 v78, v30, v86
	v_sub_f16_e32 v65, v0, v1
	v_fma_f16 v91, v57, 0xb5ac, -v80
	v_fmac_f16_e32 v80, 0xb5ac, v57
	v_add_f16_e32 v68, v79, v68
	v_add_f16_e32 v78, v87, v78
	v_fma_f16 v79, v50, 0x388b, -v85
	v_mul_f16_e32 v86, 0x33a8, v56
	v_add_f16_e32 v59, v33, v34
	v_mul_f16_e32 v81, 0x3bf1, v65
	v_add_f16_e32 v68, v80, v68
	v_fmac_f16_e32 v83, 0xb9fd, v9
	v_add_f16_e32 v78, v79, v78
	v_fma_f16 v79, v52, 0xbbc4, -v86
	v_mul_f16_e32 v80, 0x3770, v58
	v_fma_f16 v92, v59, 0x2fb7, -v81
	v_fmac_f16_e32 v81, 0x2fb7, v59
	v_add_f16_e32 v83, v30, v83
	v_fmac_f16_e32 v84, 0x2fb7, v11
	v_add_f16_e32 v78, v79, v78
	v_fma_f16 v79, v57, 0x3b15, -v80
	v_mul_f16_e32 v87, 0xbb7b, v10
	v_add_f16_e32 v68, v81, v68
	v_add_f16_e32 v81, v84, v83
	v_fmac_f16_e32 v85, 0x388b, v50
	v_add_f16_e32 v78, v79, v78
	v_fma_f16 v79, v9, 0xb5ac, -v87
	v_mul_f16_e32 v83, 0x394e, v47
	v_fmac_f16_e32 v86, 0xbbc4, v52
	v_add_f16_e32 v81, v85, v81
	v_mul_f16_e32 v89, 0x3770, v51
	v_add_f16_e32 v79, v30, v79
	v_fma_f16 v85, v11, 0xb9fd, -v83
	v_mul_f16_e32 v84, 0xbb7b, v65
	v_add_f16_e32 v81, v86, v81
	v_fmac_f16_e32 v80, 0x3b15, v57
	v_mul_f16_e32 v86, 0xbbf1, v56
	v_add_f16_e32 v79, v85, v79
	v_fma_f16 v85, v50, 0x3b15, -v89
	v_add_f16_e32 v77, v90, v77
	v_fma_f16 v90, v59, 0xb5ac, -v84
	v_add_f16_e32 v80, v80, v81
	v_fmac_f16_e32 v87, 0xb5ac, v9
	v_add_f16_e32 v79, v85, v79
	v_fma_f16 v81, v52, 0x2fb7, -v86
	v_mul_f16_e32 v85, 0x33a8, v58
	v_add_f16_e32 v78, v90, v78
	v_fmac_f16_e32 v84, 0xb5ac, v59
	v_add_f16_e32 v87, v30, v87
	v_fmac_f16_e32 v83, 0xb9fd, v11
	v_add_f16_e32 v79, v81, v79
	v_fma_f16 v81, v57, 0xbbc4, -v85
	v_mul_f16_e32 v90, 0xbbf1, v10
	v_add_f16_e32 v80, v84, v80
	v_add_f16_e32 v83, v83, v87
	v_fmac_f16_e32 v89, 0x3b15, v50
	v_add_f16_e32 v79, v81, v79
	v_fma_f16 v81, v9, 0x2fb7, -v90
	v_mul_f16_e32 v84, 0xb3a8, v47
	v_add_f16_e32 v77, v91, v77
	v_add_f16_e32 v83, v89, v83
	v_fmac_f16_e32 v86, 0x2fb7, v52
	v_add_f16_e32 v81, v30, v81
	v_fma_f16 v89, v11, 0xbbc4, -v84
	v_mul_f16_e32 v91, 0x3b7b, v51
	v_fmac_f16_e32 v90, 0x2fb7, v9
	v_add_f16_e32 v83, v86, v83
	v_fmac_f16_e32 v85, 0xbbc4, v57
	v_add_f16_e32 v81, v89, v81
	v_fma_f16 v86, v50, 0xb5ac, -v91
	v_mul_f16_e32 v89, 0x3770, v56
	v_add_f16_e32 v90, v30, v90
	v_fmac_f16_e32 v84, 0xbbc4, v11
	v_add_f16_e32 v8, v30, v46
	v_mul_f16_e32 v87, 0x3a95, v65
	v_add_f16_e32 v83, v85, v83
	v_add_f16_e32 v81, v86, v81
	v_fma_f16 v85, v52, 0x3b15, -v89
	v_mul_f16_e32 v86, 0xba95, v58
	v_add_f16_e32 v84, v84, v90
	v_fmac_f16_e32 v91, 0xb5ac, v50
	v_add_f16_e32 v8, v8, v43
	v_add_f16_e32 v77, v92, v77
	v_fma_f16 v92, v59, 0x388b, -v87
	v_fmac_f16_e32 v87, 0x388b, v59
	v_add_f16_e32 v81, v85, v81
	v_fma_f16 v85, v57, 0x388b, -v86
	v_add_f16_e32 v84, v91, v84
	v_fmac_f16_e32 v89, 0x3b15, v52
	v_add_f16_e32 v8, v8, v40
	v_add_f16_e32 v83, v87, v83
	v_mul_f16_e32 v87, 0xba95, v10
	v_add_f16_e32 v81, v85, v81
	v_mul_f16_e32 v85, 0xb94e, v65
	v_add_f16_e32 v84, v89, v84
	v_fmac_f16_e32 v86, 0x388b, v57
	v_add_f16_e32 v8, v8, v37
	v_add_f16_e32 v79, v92, v79
	v_fma_f16 v90, v9, 0x388b, -v87
	v_mul_f16_e32 v92, 0xbb7b, v47
	v_fma_f16 v91, v59, 0xb9fd, -v85
	v_add_f16_e32 v84, v86, v84
	v_fmac_f16_e32 v85, 0xb9fd, v59
	v_fmac_f16_e32 v87, 0x388b, v9
	v_add_f16_e32 v8, v8, v35
	v_fma_f16 v93, v11, 0xb5ac, -v92
	v_fmac_f16_e32 v92, 0xb5ac, v11
	v_add_f16_e32 v84, v85, v84
	v_add_f16_e32 v85, v30, v87
	v_mul_f16_e32 v10, 0xb770, v10
	v_add_f16_e32 v8, v8, v33
	v_add_f16_e32 v90, v30, v90
	v_mul_f16_e32 v47, 0xba95, v47
	v_add_f16_e32 v85, v92, v85
	v_fma_f16 v92, v9, 0x3b15, -v10
	v_fmac_f16_e32 v10, 0x3b15, v9
	v_add_f16_e32 v8, v8, v34
	v_mul_f16_e32 v94, 0xb3a8, v51
	v_add_f16_e32 v89, v93, v90
	v_fma_f16 v93, v11, 0x388b, -v47
	v_mul_f16_e32 v51, 0xbbf1, v51
	v_add_f16_e32 v10, v30, v10
	v_fmac_f16_e32 v47, 0x388b, v11
	v_add_f16_e32 v8, v8, v36
	v_add_f16_e32 v11, v30, v92
	;; [unrolled: 1-line block ×3, first 2 shown]
	v_fma_f16 v90, v50, 0xbbc4, -v94
	v_mul_f16_e32 v91, 0x394e, v56
	v_fma_f16 v30, v50, 0x2fb7, -v51
	v_mul_f16_e32 v56, 0xbb7b, v56
	v_add_f16_e32 v10, v47, v10
	v_fmac_f16_e32 v51, 0x2fb7, v50
	v_fmac_f16_e32 v94, 0xbbc4, v50
	v_add_f16_e32 v8, v8, v38
	v_add_f16_e32 v11, v93, v11
	;; [unrolled: 1-line block ×3, first 2 shown]
	v_mul_f16_e32 v90, 0x3bf1, v58
	v_fma_f16 v50, v52, 0xb5ac, -v56
	v_mul_f16_e32 v58, 0xb94e, v58
	v_add_f16_e32 v10, v51, v10
	v_fmac_f16_e32 v56, 0xb5ac, v52
	v_fma_f16 v89, v52, 0xb9fd, -v91
	v_add_f16_e32 v85, v94, v85
	v_fmac_f16_e32 v91, 0xb9fd, v52
	v_add_f16_e32 v8, v8, v41
	v_add_f16_e32 v11, v30, v11
	v_mul_u32_u24_e32 v52, 52, v32
	v_fma_f16 v30, v57, 0xb9fd, -v58
	v_mul_f16_e32 v51, 0xb3a8, v65
	v_add_f16_e32 v10, v56, v10
	v_fmac_f16_e32 v58, 0xb9fd, v57
	v_add_f16_e32 v86, v89, v86
	v_fma_f16 v87, v57, 0x2fb7, -v90
	v_mul_f16_e32 v89, 0x3770, v65
	v_add_f16_e32 v47, v91, v85
	v_fmac_f16_e32 v90, 0x2fb7, v57
	v_add_f16_e32 v8, v8, v44
	v_add_f16_e32 v11, v50, v11
	v_or_b32_e32 v52, v52, v13
	v_fma_f16 v50, v59, 0xbbc4, -v51
	v_add_f16_e32 v10, v58, v10
	v_fmac_f16_e32 v51, 0xbbc4, v59
	v_fma_f16 v9, v59, 0x3b15, -v89
	v_add_f16_e32 v47, v90, v47
	v_fmac_f16_e32 v89, 0x3b15, v59
	v_add_f16_e32 v8, v8, v49
	v_add_f16_e32 v56, v87, v86
	;; [unrolled: 1-line block ×3, first 2 shown]
	v_lshl_add_u32 v30, v52, 1, 0
	v_add_f16_e32 v10, v51, v10
	v_add_f16_e32 v47, v89, v47
	;; [unrolled: 1-line block ×4, first 2 shown]
	ds_store_b16 v30, v8
	ds_store_b16 v30, v10 offset:8
	ds_store_b16 v30, v47 offset:16
	;; [unrolled: 1-line block ×12, first 2 shown]
.LBB0_17:
	s_wait_alu 0xfffe
	s_or_b32 exec_lo, exec_lo, s1
	v_add_f16_e32 v8, v31, v102
	v_add_f16_e32 v9, v102, v62
	v_sub_f16_e32 v10, v105, v106
	v_add_f16_e32 v11, v74, v73
	v_sub_f16_e32 v30, v103, v104
	v_add_f16_e32 v8, v8, v74
	v_mul_f16_e32 v47, 0x3b15, v9
	v_mul_f16_e32 v50, 0x388b, v9
	;; [unrolled: 1-line block ×4, first 2 shown]
	v_add_f16_e32 v8, v8, v72
	v_mul_f16_e32 v56, 0xb9fd, v9
	v_mul_f16_e32 v9, 0xbbc4, v9
	;; [unrolled: 1-line block ×3, first 2 shown]
	v_fmamk_f16 v68, v10, 0x3770, v47
	v_add_f16_e32 v8, v8, v71
	v_fmac_f16_e32 v47, 0xb770, v10
	v_mul_f16_e32 v58, 0xb5ac, v11
	v_mul_f16_e32 v59, 0xbbc4, v11
	v_fmamk_f16 v74, v10, 0x3a95, v50
	v_add_f16_e32 v8, v8, v69
	v_fmac_f16_e32 v50, 0xba95, v10
	v_fmamk_f16 v77, v10, 0x3bf1, v51
	v_fmac_f16_e32 v51, 0xbbf1, v10
	v_fmamk_f16 v78, v10, 0x3b7b, v52
	v_add_f16_e32 v8, v8, v60
	v_fmac_f16_e32 v52, 0xbb7b, v10
	v_fmamk_f16 v79, v10, 0x394e, v56
	v_fmac_f16_e32 v56, 0xb94e, v10
	;; [unrolled: 5-line block ×3, first 2 shown]
	v_add_f16_e32 v47, v31, v47
	v_add_f16_e32 v8, v8, v67
	v_mul_f16_e32 v65, 0xb9fd, v11
	v_fmamk_f16 v81, v30, 0x3b7b, v58
	v_fmac_f16_e32 v58, 0xbb7b, v30
	v_add_f16_e32 v68, v31, v68
	v_add_f16_e32 v8, v8, v66
	;; [unrolled: 1-line block ×15, first 2 shown]
	v_fmamk_f16 v47, v30, 0x33a8, v59
	v_fmac_f16_e32 v59, 0xb3a8, v30
	v_add_f16_e32 v50, v58, v50
	v_fmamk_f16 v57, v30, 0xb94e, v65
	v_fmac_f16_e32 v65, 0x394e, v30
	v_mul_f16_e32 v58, 0x2fb7, v11
	v_add_f16_e32 v51, v59, v51
	v_add_f16_e32 v59, v72, v64
	;; [unrolled: 1-line block ×5, first 2 shown]
	v_fmamk_f16 v62, v30, 0xbbf1, v58
	v_mul_f16_e32 v11, 0x3b15, v11
	v_fmac_f16_e32 v58, 0x3bf1, v30
	v_sub_f16_e32 v64, v82, v88
	v_mul_f16_e32 v65, 0x2fb7, v59
	v_add_f16_e32 v8, v81, v74
	v_fmamk_f16 v72, v30, 0xb770, v11
	v_fmac_f16_e32 v11, 0x3770, v30
	v_add_f16_e32 v30, v58, v56
	v_fmamk_f16 v56, v64, 0x3bf1, v65
	v_mul_f16_e32 v58, 0xbbc4, v59
	v_fmac_f16_e32 v65, 0xbbf1, v64
	v_add_f16_e32 v9, v11, v9
	v_add_f16_e32 v47, v47, v77
	;; [unrolled: 1-line block ×3, first 2 shown]
	v_fmamk_f16 v11, v64, 0x33a8, v58
	v_mul_f16_e32 v56, 0xb5ac, v59
	v_fmac_f16_e32 v58, 0xb3a8, v64
	v_add_f16_e32 v31, v65, v31
	v_mul_f16_e32 v65, 0x3b15, v59
	v_add_f16_e32 v57, v57, v78
	v_add_f16_e32 v8, v11, v8
	v_fmamk_f16 v11, v64, 0xbb7b, v56
	v_add_f16_e32 v50, v58, v50
	v_fmac_f16_e32 v56, 0x3b7b, v64
	v_fmamk_f16 v58, v64, 0xb770, v65
	v_fmac_f16_e32 v65, 0x3770, v64
	v_add_f16_e32 v11, v11, v47
	v_mul_f16_e32 v47, 0x388b, v59
	v_add_f16_e32 v51, v56, v51
	v_add_f16_e32 v56, v58, v57
	;; [unrolled: 1-line block ×5, first 2 shown]
	v_fmamk_f16 v58, v64, 0x3a95, v47
	v_mul_f16_e32 v59, 0xb9fd, v59
	v_fmac_f16_e32 v47, 0xba95, v64
	v_sub_f16_e32 v65, v75, v76
	v_mul_f16_e32 v66, 0xb5ac, v57
	v_add_f16_e32 v58, v58, v62
	v_fmamk_f16 v62, v64, 0x394e, v59
	v_fmac_f16_e32 v59, 0xb94e, v64
	v_add_f16_e32 v30, v47, v30
	v_fmamk_f16 v47, v65, 0x3b7b, v66
	v_mul_f16_e32 v64, 0xb9fd, v57
	v_fmac_f16_e32 v66, 0xbb7b, v65
	v_add_f16_e32 v9, v59, v9
	v_mul_f16_e32 v59, 0x3b15, v57
	v_add_f16_e32 v10, v47, v10
	v_fmamk_f16 v47, v65, 0xb94e, v64
	v_fmac_f16_e32 v64, 0x394e, v65
	v_add_f16_e32 v31, v66, v31
	v_mul_f16_e32 v66, 0x2fb7, v57
	v_add_f16_e32 v72, v72, v73
	v_add_f16_e32 v8, v47, v8
	v_fmamk_f16 v47, v65, 0xb770, v59
	v_fmac_f16_e32 v59, 0x3770, v65
	v_add_f16_e32 v50, v64, v50
	v_fmamk_f16 v64, v65, 0x3bf1, v66
	v_fmac_f16_e32 v66, 0xbbf1, v65
	v_add_f16_e32 v11, v47, v11
	v_mul_f16_e32 v47, 0xbbc4, v57
	v_add_f16_e32 v51, v59, v51
	v_add_f16_e32 v59, v69, v67
	;; [unrolled: 1-line block ×4, first 2 shown]
	v_fmamk_f16 v64, v65, 0xb3a8, v47
	v_mul_f16_e32 v57, 0x388b, v57
	v_fmac_f16_e32 v47, 0x33a8, v65
	v_sub_f16_e32 v63, v63, v70
	v_mul_f16_e32 v66, 0xb9fd, v59
	v_add_f16_e32 v62, v62, v72
	v_add_f16_e32 v58, v64, v58
	v_fmamk_f16 v64, v65, 0xba95, v57
	v_fmac_f16_e32 v57, 0x3a95, v65
	v_add_f16_e32 v30, v47, v30
	v_fmamk_f16 v47, v63, 0x394e, v66
	v_mul_f16_e32 v65, 0x2fb7, v59
	v_add_f16_e32 v62, v64, v62
	v_add_f16_e32 v9, v57, v9
	v_fmac_f16_e32 v66, 0xb94e, v63
	v_add_f16_e32 v10, v47, v10
	v_fmamk_f16 v47, v63, 0xbbf1, v65
	v_mul_f16_e32 v57, 0x388b, v59
	v_fmac_f16_e32 v65, 0x3bf1, v63
	v_mul_f16_e32 v64, 0xbbc4, v59
	v_add_f16_e32 v31, v66, v31
	v_add_f16_e32 v8, v47, v8
	v_fmamk_f16 v47, v63, 0x3a95, v57
	v_add_f16_e32 v50, v65, v50
	v_fmac_f16_e32 v57, 0xba95, v63
	v_fmamk_f16 v65, v63, 0xb3a8, v64
	v_mul_f16_e32 v66, 0x3b15, v59
	v_add_f16_e32 v11, v47, v11
	v_sub_f16_e32 v54, v54, v55
	v_add_f16_e32 v47, v57, v51
	v_add_f16_e32 v51, v65, v56
	v_fmamk_f16 v56, v63, 0xb770, v66
	v_mul_f16_e32 v57, 0xb5ac, v59
	v_add_f16_e32 v59, v60, v61
	v_fmac_f16_e32 v64, 0x33a8, v63
	v_fmac_f16_e32 v66, 0x3770, v63
	v_add_f16_e32 v56, v56, v58
	v_fmamk_f16 v58, v63, 0x3b7b, v57
	v_mul_f16_e32 v55, 0xbbc4, v59
	v_fmac_f16_e32 v57, 0xbb7b, v63
	v_mul_f16_e32 v60, 0x3b15, v59
	v_add_f16_e32 v52, v64, v52
	v_add_f16_e32 v69, v58, v62
	v_fmamk_f16 v58, v54, 0x33a8, v55
	v_add_f16_e32 v70, v57, v9
	v_fmamk_f16 v9, v54, 0xb770, v60
	v_mul_f16_e32 v57, 0xb9fd, v59
	v_add_f16_e32 v30, v66, v30
	v_add_f16_e32 v71, v58, v10
	v_mul_f16_e32 v10, 0xb5ac, v59
	v_add_f16_e32 v73, v9, v8
	v_fmamk_f16 v8, v54, 0x394e, v57
	v_mul_f16_e32 v9, 0x388b, v59
	v_fmac_f16_e32 v55, 0xb3a8, v54
	v_fmac_f16_e32 v60, 0x3770, v54
	;; [unrolled: 1-line block ×3, first 2 shown]
	v_add_f16_e32 v75, v8, v11
	v_fmamk_f16 v8, v54, 0xba95, v9
	v_fmac_f16_e32 v9, 0x3a95, v54
	v_fmamk_f16 v11, v54, 0x3b7b, v10
	v_fmac_f16_e32 v10, 0xbb7b, v54
	v_mul_f16_e32 v77, 0x2fb7, v59
	v_add_f16_e32 v72, v55, v31
	v_add_f16_e32 v74, v60, v50
	;; [unrolled: 1-line block ×7, first 2 shown]
	v_fmamk_f16 v82, v54, 0xbbf1, v77
	v_fmac_f16_e32 v77, 0x3bf1, v54
	global_wb scope:SCOPE_SE
	s_wait_dscnt 0x0
	s_barrier_signal -1
	s_barrier_wait -1
	global_inv scope:SCOPE_SE
	ds_load_u16 v66, v21 offset:1352
	ds_load_u16 v54, v21 offset:1456
	;; [unrolled: 1-line block ×3, first 2 shown]
	ds_load_u16 v65, v21
	ds_load_u16 v64, v21 offset:104
	ds_load_u16 v52, v21 offset:208
	;; [unrolled: 1-line block ×20, first 2 shown]
	v_add_f16_e32 v69, v82, v69
	v_add_f16_e32 v70, v77, v70
	global_wb scope:SCOPE_SE
	s_wait_dscnt 0x0
	s_barrier_signal -1
	s_barrier_wait -1
	global_inv scope:SCOPE_SE
	ds_store_b16 v45, v68
	ds_store_b16 v45, v71 offset:8
	ds_store_b16 v45, v73 offset:16
	;; [unrolled: 1-line block ×12, first 2 shown]
	s_and_saveexec_b32 s1, s0
	s_cbranch_execz .LBB0_19
; %bb.18:
	v_add_f16_e32 v45, v29, v53
	v_sub_f16_e32 v43, v43, v44
	v_add_f16_e32 v53, v53, v6
	v_sub_f16_e32 v46, v46, v49
	v_add_f16_e32 v49, v48, v7
	v_add_f16_e32 v44, v45, v48
	v_sub_f16_e32 v40, v40, v41
	v_mul_f16_e32 v48, 0x388b, v53
	v_mul_f16_e32 v45, 0x3b15, v53
	;; [unrolled: 1-line block ×3, first 2 shown]
	v_add_f16_e32 v44, v44, v42
	v_mul_f16_e32 v68, 0x2fb7, v53
	v_fmamk_f16 v76, v46, 0x3a95, v48
	v_fmac_f16_e32 v48, 0xba95, v46
	v_mul_f16_e32 v69, 0xb5ac, v53
	v_add_f16_e32 v44, v44, v39
	v_mul_f16_e32 v70, 0xb9fd, v53
	v_mul_f16_e32 v53, 0xbbc4, v53
	v_fmamk_f16 v81, v43, 0x3b7b, v72
	v_fmac_f16_e32 v72, 0xbb7b, v43
	v_add_f16_e32 v44, v44, v2
	v_add_f16_e32 v48, v29, v48
	v_mul_f16_e32 v71, 0x388b, v49
	v_mul_f16_e32 v73, 0xbbc4, v49
	v_fmamk_f16 v75, v46, 0x3770, v45
	v_add_f16_e32 v44, v44, v0
	v_fmac_f16_e32 v45, 0xb770, v46
	v_fmamk_f16 v77, v46, 0x3bf1, v68
	v_fmac_f16_e32 v68, 0xbbf1, v46
	v_fmamk_f16 v78, v46, 0x3b7b, v69
	v_add_f16_e32 v44, v44, v1
	v_fmac_f16_e32 v69, 0xbb7b, v46
	v_fmamk_f16 v79, v46, 0x394e, v70
	v_fmac_f16_e32 v70, 0xb94e, v46
	v_fmamk_f16 v80, v46, 0x33a8, v53
	v_add_f16_e32 v44, v44, v3
	v_fmac_f16_e32 v53, 0xb3a8, v46
	v_add_f16_e32 v48, v72, v48
	v_mul_f16_e32 v72, 0x2fb7, v49
	v_mul_f16_e32 v74, 0xb9fd, v49
	v_add_f16_e32 v44, v44, v4
	v_fmamk_f16 v46, v43, 0x3a95, v71
	v_fmac_f16_e32 v71, 0xba95, v43
	v_add_f16_e32 v75, v29, v75
	v_add_f16_e32 v45, v29, v45
	;; [unrolled: 1-line block ×14, first 2 shown]
	v_fmamk_f16 v53, v43, 0x33a8, v73
	v_fmac_f16_e32 v73, 0xb3a8, v43
	v_fmamk_f16 v42, v43, 0xbbf1, v72
	v_mul_f16_e32 v49, 0x3b15, v49
	v_fmac_f16_e32 v72, 0x3bf1, v43
	v_mul_f16_e32 v41, 0x2fb7, v5
	v_add_f16_e32 v46, v46, v75
	v_add_f16_e32 v45, v71, v45
	v_fmamk_f16 v71, v43, 0xb94e, v74
	v_fmac_f16_e32 v74, 0x394e, v43
	v_add_f16_e32 v68, v73, v68
	v_fmamk_f16 v73, v43, 0xb770, v49
	v_fmac_f16_e32 v49, 0x3770, v43
	v_add_f16_e32 v43, v72, v70
	v_fmamk_f16 v70, v40, 0x3bf1, v41
	v_mul_f16_e32 v72, 0xbbc4, v5
	v_add_f16_e32 v6, v7, v6
	v_add_f16_e32 v7, v81, v76
	;; [unrolled: 1-line block ×4, first 2 shown]
	v_fmamk_f16 v49, v40, 0x33a8, v72
	v_mul_f16_e32 v70, 0xb5ac, v5
	v_add_f16_e32 v53, v53, v77
	v_fmac_f16_e32 v41, 0xbbf1, v40
	v_add_f16_e32 v4, v39, v4
	v_add_f16_e32 v7, v49, v7
	v_fmamk_f16 v49, v40, 0xbb7b, v70
	v_add_f16_e32 v42, v42, v79
	v_fmac_f16_e32 v72, 0xb3a8, v40
	v_add_f16_e32 v41, v41, v45
	v_mul_f16_e32 v45, 0x3b15, v5
	v_add_f16_e32 v49, v49, v53
	v_mul_f16_e32 v53, 0x388b, v5
	v_mul_f16_e32 v5, 0xb9fd, v5
	v_sub_f16_e32 v37, v37, v38
	v_mul_f16_e32 v38, 0xb5ac, v4
	v_add_f16_e32 v44, v73, v44
	v_fmamk_f16 v39, v40, 0x3a95, v53
	v_fmac_f16_e32 v53, 0xba95, v40
	v_add_f16_e32 v48, v72, v48
	v_fmac_f16_e32 v70, 0x3b7b, v40
	v_fmamk_f16 v72, v40, 0xb770, v45
	v_fmac_f16_e32 v45, 0x3770, v40
	v_add_f16_e32 v39, v39, v42
	v_fmamk_f16 v42, v40, 0x394e, v5
	v_add_f16_e32 v43, v53, v43
	v_fmac_f16_e32 v5, 0xb94e, v40
	v_fmamk_f16 v40, v37, 0x3b7b, v38
	v_mul_f16_e32 v53, 0xb9fd, v4
	v_add_f16_e32 v42, v42, v44
	v_fmac_f16_e32 v38, 0xbb7b, v37
	v_add_f16_e32 v5, v5, v29
	v_add_f16_e32 v29, v40, v46
	v_fmamk_f16 v40, v37, 0xb94e, v53
	v_mul_f16_e32 v44, 0x3b15, v4
	v_add_f16_e32 v69, v74, v69
	v_add_f16_e32 v38, v38, v41
	v_fmac_f16_e32 v53, 0x394e, v37
	v_mul_f16_e32 v41, 0x2fb7, v4
	v_add_f16_e32 v7, v40, v7
	v_fmamk_f16 v40, v37, 0xb770, v44
	v_add_f16_e32 v2, v2, v3
	v_add_f16_e32 v45, v45, v69
	;; [unrolled: 1-line block ×3, first 2 shown]
	v_fmamk_f16 v48, v37, 0x3bf1, v41
	v_fmac_f16_e32 v41, 0xbbf1, v37
	v_add_f16_e32 v40, v40, v49
	v_mul_f16_e32 v49, 0xbbc4, v4
	v_mul_f16_e32 v3, 0x388b, v4
	v_sub_f16_e32 v35, v35, v36
	v_mul_f16_e32 v36, 0xb9fd, v2
	v_fmac_f16_e32 v44, 0x3770, v37
	v_add_f16_e32 v41, v41, v45
	v_fmamk_f16 v4, v37, 0xb3a8, v49
	v_fmac_f16_e32 v49, 0x33a8, v37
	v_fmamk_f16 v45, v37, 0xba95, v3
	v_fmac_f16_e32 v3, 0x3a95, v37
	v_fmamk_f16 v37, v35, 0x394e, v36
	v_add_f16_e32 v68, v70, v68
	v_add_f16_e32 v4, v4, v39
	;; [unrolled: 1-line block ×3, first 2 shown]
	v_mul_f16_e32 v43, 0x2fb7, v2
	v_fmac_f16_e32 v36, 0xb94e, v35
	v_add_f16_e32 v3, v3, v5
	v_add_f16_e32 v5, v37, v29
	v_mul_f16_e32 v29, 0x388b, v2
	v_add_f16_e32 v44, v44, v68
	v_add_f16_e32 v42, v45, v42
	v_fmamk_f16 v37, v35, 0xbbf1, v43
	v_add_f16_e32 v36, v36, v38
	v_fmac_f16_e32 v43, 0x3bf1, v35
	v_mul_f16_e32 v38, 0xbbc4, v2
	v_fmamk_f16 v45, v35, 0x3a95, v29
	v_fmac_f16_e32 v29, 0xba95, v35
	v_add_f16_e32 v7, v37, v7
	v_add_f16_e32 v37, v43, v46
	v_fmamk_f16 v43, v35, 0xb3a8, v38
	v_fmac_f16_e32 v38, 0x33a8, v35
	v_add_f16_e32 v29, v29, v44
	v_mul_f16_e32 v44, 0x3b15, v2
	v_mul_f16_e32 v2, 0xb5ac, v2
	v_add_f16_e32 v0, v0, v1
	v_add_f16_e32 v38, v38, v41
	v_sub_f16_e32 v33, v33, v34
	v_fmamk_f16 v1, v35, 0xb770, v44
	v_fmac_f16_e32 v44, 0x3770, v35
	v_fmamk_f16 v41, v35, 0x3b7b, v2
	v_mul_f16_e32 v34, 0xbbc4, v0
	v_fmac_f16_e32 v2, 0xbb7b, v35
	v_add_f16_e32 v1, v1, v4
	v_add_f16_e32 v4, v44, v39
	;; [unrolled: 1-line block ×3, first 2 shown]
	v_fmamk_f16 v39, v33, 0x33a8, v34
	v_add_f16_e32 v2, v2, v3
	v_mul_f16_e32 v3, 0xb9fd, v0
	v_add_f16_e32 v35, v41, v42
	v_add_f16_e32 v70, v72, v71
	;; [unrolled: 1-line block ×3, first 2 shown]
	v_fmac_f16_e32 v34, 0xb3a8, v33
	v_fmamk_f16 v39, v33, 0x394e, v3
	v_fmac_f16_e32 v3, 0xb94e, v33
	v_mul_f16_e32 v41, 0x3b15, v0
	v_add_f16_e32 v48, v48, v70
	v_add_f16_e32 v40, v45, v40
	;; [unrolled: 1-line block ×4, first 2 shown]
	v_mul_u32_u24_e32 v29, 52, v32
	v_fmamk_f16 v36, v33, 0xb770, v41
	v_fmac_f16_e32 v41, 0x3770, v33
	v_mul_f16_e32 v42, 0x388b, v0
	v_mul_f16_e32 v32, 0xb5ac, v0
	;; [unrolled: 1-line block ×3, first 2 shown]
	v_or_b32_e32 v13, v29, v13
	v_add_f16_e32 v43, v43, v48
	v_add_f16_e32 v7, v36, v7
	;; [unrolled: 1-line block ×4, first 2 shown]
	v_fmamk_f16 v39, v33, 0xba95, v42
	v_fmac_f16_e32 v42, 0x3a95, v33
	v_fmamk_f16 v29, v33, 0x3b7b, v32
	v_fmac_f16_e32 v32, 0xbb7b, v33
	;; [unrolled: 2-line block ×3, first 2 shown]
	v_lshl_add_u32 v13, v13, 1, 0
	v_add_f16_e32 v39, v39, v43
	v_add_f16_e32 v38, v42, v38
	;; [unrolled: 1-line block ×6, first 2 shown]
	ds_store_b16 v13, v6
	ds_store_b16 v13, v5 offset:8
	ds_store_b16 v13, v7 offset:16
	;; [unrolled: 1-line block ×12, first 2 shown]
.LBB0_19:
	s_wait_alu 0xfffe
	s_or_b32 exec_lo, exec_lo, s1
	v_dual_mov_b32 v13, 0 :: v_dual_and_b32 v4, 0xff, v19
	v_and_b32_e32 v5, 0xff, v28
	v_and_b32_e32 v6, 0xffff, v24
	;; [unrolled: 1-line block ×3, first 2 shown]
	s_delay_alu instid0(VALU_DEP_4)
	v_lshlrev_b64_e32 v[0:1], 2, v[12:13]
	v_mul_lo_u16 v4, 0x4f, v4
	v_mul_lo_u16 v5, 0x4f, v5
	v_mul_u32_u24_e32 v6, 0x4ec5, v6
	v_mul_u32_u24_e32 v7, 0x4ec5, v7
	v_and_b32_e32 v12, 0xffff, v26
	v_lshrrev_b16 v4, 12, v4
	v_lshrrev_b16 v5, 12, v5
	v_lshrrev_b32_e32 v29, 20, v6
	v_lshrrev_b32_e32 v32, 20, v7
	v_and_b32_e32 v38, 0xffff, v17
	v_mul_lo_u16 v4, v4, 52
	v_mul_lo_u16 v5, v5, 52
	v_and_b32_e32 v40, 0xffff, v22
	v_and_b32_e32 v41, 0xffff, v20
	v_mul_u32_u24_e32 v12, 0x4ec5, v12
	v_sub_nc_u16 v4, v19, v4
	v_mul_lo_u16 v19, v29, 52
	v_mul_lo_u16 v29, v32, 52
	v_sub_nc_u16 v5, v28, v5
	v_mul_u32_u24_e32 v38, 0x4ec5, v38
	v_and_b32_e32 v28, 0xff, v4
	v_sub_nc_u16 v4, v24, v19
	v_sub_nc_u16 v19, v25, v29
	v_mul_u32_u24_e32 v40, 0x4ec5, v40
	v_mul_u32_u24_e32 v41, 0x4ec5, v41
	v_lshrrev_b32_e32 v33, 20, v12
	v_lshrrev_b32_e32 v38, 20, v38
	v_and_b32_e32 v34, 0xffff, v19
	v_and_b32_e32 v19, 0xffff, v27
	v_lshrrev_b32_e32 v40, 20, v40
	v_lshrrev_b32_e32 v41, 20, v41
	v_add_co_u32 v2, s0, s4, v0
	s_delay_alu instid0(VALU_DEP_4)
	v_mul_u32_u24_e32 v39, 0x4ec5, v19
	v_and_b32_e32 v19, 0xffff, v23
	s_wait_alu 0xf1ff
	v_add_co_ci_u32_e64 v3, s0, s5, v1, s0
	v_mul_lo_u16 v32, v33, 52
	v_lshrrev_b32_e32 v42, 20, v39
	v_mul_u32_u24_e32 v19, 0x4ec5, v19
	v_mul_lo_u16 v38, v38, 52
	v_mul_lo_u16 v40, v40, 52
	;; [unrolled: 1-line block ×4, first 2 shown]
	v_lshrrev_b32_e32 v19, 20, v19
	global_wb scope:SCOPE_SE
	s_wait_dscnt 0x0
	s_barrier_signal -1
	s_barrier_wait -1
	global_inv scope:SCOPE_SE
	v_mul_lo_u16 v19, v19, 52
	v_sub_nc_u16 v29, v26, v32
	global_load_b32 v43, v[2:3], off offset:200
	v_sub_nc_u16 v17, v17, v38
	v_sub_nc_u16 v38, v22, v40
	;; [unrolled: 1-line block ×5, first 2 shown]
	v_and_b32_e32 v32, 0xff, v5
	v_and_b32_e32 v33, 0xffff, v4
	;; [unrolled: 1-line block ×6, first 2 shown]
	v_lshlrev_b32_e32 v5, 2, v28
	v_and_b32_e32 v41, 0xffff, v42
	v_and_b32_e32 v42, 0xffff, v17
	v_lshlrev_b32_e32 v4, 2, v32
	v_lshlrev_b32_e32 v35, 2, v33
	;; [unrolled: 1-line block ×9, first 2 shown]
	s_clause 0x9
	global_load_b32 v49, v5, s[4:5] offset:200
	global_load_b32 v53, v4, s[4:5] offset:200
	;; [unrolled: 1-line block ×10, first 2 shown]
	v_mov_b32_e32 v19, v13
	v_mov_b32_e32 v17, v13
	ds_load_u16 v70, v21 offset:1352
	ds_load_u16 v71, v21 offset:1456
	;; [unrolled: 1-line block ×3, first 2 shown]
	ds_load_u16 v73, v21
	ds_load_u16 v74, v21 offset:104
	ds_load_u16 v75, v21 offset:208
	;; [unrolled: 1-line block ×12, first 2 shown]
	v_lshrrev_b32_e32 v39, 21, v39
	v_lshrrev_b32_e32 v12, 21, v12
	ds_load_u16 v86, v21 offset:1664
	ds_load_u16 v87, v21 offset:1768
	;; [unrolled: 1-line block ×8, first 2 shown]
	v_lshlrev_b64_e32 v[4:5], 2, v[16:17]
	v_lshrrev_b32_e32 v16, 21, v6
	v_lshrrev_b32_e32 v17, 21, v7
	v_lshlrev_b64_e32 v[6:7], 2, v[18:19]
	v_mul_lo_u16 v18, 0x68, v39
	v_mul_lo_u16 v12, 0x68, v12
	;; [unrolled: 1-line block ×3, first 2 shown]
	v_lshl_add_u32 v19, v34, 1, 0
	v_mul_lo_u16 v17, 0x68, v17
	v_sub_nc_u16 v18, v27, v18
	v_sub_nc_u16 v12, v26, v12
	;; [unrolled: 1-line block ×3, first 2 shown]
	v_lshl_add_u32 v27, v29, 1, 0
	v_lshl_add_u32 v29, v42, 1, 0
	v_and_b32_e32 v26, 0xffff, v18
	v_lshl_add_u32 v18, v33, 1, 0
	v_and_b32_e32 v24, 0xffff, v16
	v_lshl_add_u32 v16, v28, 1, 0
	v_lshl_add_u32 v28, v41, 1, 0
	;; [unrolled: 1-line block ×4, first 2 shown]
	v_sub_nc_u16 v17, v25, v17
	v_add_co_u32 v4, s0, s4, v4
	s_wait_alu 0xf1ff
	v_add_co_ci_u32_e64 v5, s0, s5, v5, s0
	s_delay_alu instid0(VALU_DEP_3)
	v_and_b32_e32 v25, 0xffff, v17
	v_lshl_add_u32 v17, v32, 1, 0
	v_lshl_add_u32 v32, v44, 1, 0
	v_and_b32_e32 v12, 0xffff, v12
	v_add_co_u32 v6, s0, s4, v6
	s_wait_alu 0xf1ff
	v_add_co_ci_u32_e64 v7, s0, s5, v7, s0
	v_lshlrev_b32_e32 v39, 3, v24
	global_wb scope:SCOPE_SE
	s_wait_loadcnt_dscnt 0x0
	s_barrier_signal -1
	s_barrier_wait -1
	global_inv scope:SCOPE_SE
	v_lshl_add_u32 v24, v24, 1, 0
	v_lshrrev_b32_e32 v34, 16, v43
	s_delay_alu instid0(VALU_DEP_1) | instskip(SKIP_3) | instid1(VALU_DEP_4)
	v_mul_f16_e32 v40, v84, v34
	v_mul_f16_e32 v41, v67, v34
	;; [unrolled: 1-line block ×4, first 2 shown]
	v_fmac_f16_e32 v40, v67, v43
	s_delay_alu instid0(VALU_DEP_4) | instskip(NEXT) | instid1(VALU_DEP_4)
	v_fma_f16 v41, v84, v43, -v41
	v_fmac_f16_e32 v42, v66, v43
	s_delay_alu instid0(VALU_DEP_4)
	v_fma_f16 v34, v70, v43, -v34
	v_lshrrev_b32_e32 v43, 16, v49
	v_lshrrev_b32_e32 v44, 16, v53
	;; [unrolled: 1-line block ×10, first 2 shown]
	v_mul_f16_e32 v98, v71, v43
	v_mul_f16_e32 v102, v88, v70
	v_mul_f16_e32 v43, v54, v43
	v_mul_f16_e32 v99, v72, v44
	v_mul_f16_e32 v100, v86, v66
	v_mul_f16_e32 v101, v87, v67
	v_mul_f16_e32 v103, v89, v84
	v_mul_f16_e32 v104, v90, v94
	v_mul_f16_e32 v105, v91, v95
	v_mul_f16_e32 v106, v92, v96
	v_mul_f16_e32 v107, v93, v97
	v_mul_f16_e32 v44, v55, v44
	v_mul_f16_e32 v66, v63, v66
	v_mul_f16_e32 v67, v62, v67
	v_mul_f16_e32 v70, v61, v70
	v_mul_f16_e32 v84, v60, v84
	v_mul_f16_e32 v94, v59, v94
	v_mul_f16_e32 v95, v58, v95
	v_mul_f16_e32 v96, v57, v96
	v_mul_f16_e32 v97, v56, v97
	v_fmac_f16_e32 v98, v54, v49
	v_fmac_f16_e32 v102, v61, v37
	v_sub_f16_e32 v40, v65, v40
	v_fma_f16 v43, v71, v49, -v43
	v_fmac_f16_e32 v99, v55, v53
	v_fmac_f16_e32 v100, v63, v35
	;; [unrolled: 1-line block ×8, first 2 shown]
	v_sub_f16_e32 v41, v73, v41
	v_fma_f16 v44, v72, v53, -v44
	v_fma_f16 v35, v86, v35, -v66
	v_fma_f16 v36, v87, v36, -v67
	v_fma_f16 v37, v88, v37, -v70
	v_fma_f16 v49, v89, v68, -v84
	v_fma_f16 v53, v90, v69, -v94
	v_fma_f16 v45, v91, v45, -v95
	v_fma_f16 v46, v92, v46, -v96
	v_fma_f16 v48, v93, v48, -v97
	v_sub_f16_e32 v42, v64, v42
	v_sub_f16_e32 v34, v74, v34
	;; [unrolled: 1-line block ×4, first 2 shown]
	v_fma_f16 v65, v65, 2.0, -v40
	v_sub_f16_e32 v43, v75, v43
	v_sub_f16_e32 v55, v50, v99
	v_sub_f16_e32 v56, v8, v100
	v_sub_f16_e32 v57, v9, v101
	v_sub_f16_e32 v59, v11, v103
	v_sub_f16_e32 v60, v30, v104
	v_sub_f16_e32 v61, v31, v105
	v_sub_f16_e32 v62, v47, v106
	v_sub_f16_e32 v63, v51, v107
	v_fma_f16 v73, v73, 2.0, -v41
	v_sub_f16_e32 v44, v76, v44
	v_sub_f16_e32 v35, v77, v35
	;; [unrolled: 1-line block ×9, first 2 shown]
	v_fma_f16 v64, v64, 2.0, -v42
	v_fma_f16 v74, v74, 2.0, -v34
	v_fma_f16 v52, v52, 2.0, -v54
	v_fma_f16 v10, v10, 2.0, -v58
	v_fma_f16 v66, v75, 2.0, -v43
	v_fma_f16 v50, v50, 2.0, -v55
	v_fma_f16 v8, v8, 2.0, -v56
	v_fma_f16 v9, v9, 2.0, -v57
	v_fma_f16 v11, v11, 2.0, -v59
	v_fma_f16 v30, v30, 2.0, -v60
	v_fma_f16 v31, v31, 2.0, -v61
	v_fma_f16 v47, v47, 2.0, -v62
	v_fma_f16 v51, v51, 2.0, -v63
	ds_store_b16 v21, v65
	ds_store_b16 v21, v40 offset:104
	ds_store_b16 v21, v64 offset:208
	;; [unrolled: 1-line block ×23, first 2 shown]
	v_lshlrev_b32_e32 v10, 3, v25
	v_fma_f16 v67, v76, 2.0, -v44
	v_fma_f16 v68, v77, 2.0, -v35
	;; [unrolled: 1-line block ×9, first 2 shown]
	global_wb scope:SCOPE_SE
	s_wait_dscnt 0x0
	s_barrier_signal -1
	s_barrier_wait -1
	global_inv scope:SCOPE_SE
	ds_load_u16 v30, v21
	ds_load_u16 v31, v21 offset:104
	ds_load_u16 v40, v21 offset:208
	;; [unrolled: 1-line block ×23, first 2 shown]
	global_wb scope:SCOPE_SE
	s_wait_dscnt 0x0
	s_barrier_signal -1
	s_barrier_wait -1
	global_inv scope:SCOPE_SE
	ds_store_b16 v21, v73
	ds_store_b16 v21, v41 offset:104
	ds_store_b16 v21, v74 offset:208
	;; [unrolled: 1-line block ×23, first 2 shown]
	v_lshlrev_b32_e32 v16, 3, v12
	global_wb scope:SCOPE_SE
	s_wait_dscnt 0x0
	s_barrier_signal -1
	s_barrier_wait -1
	global_inv scope:SCOPE_SE
	s_clause 0x1
	global_load_b64 v[4:5], v[4:5], off offset:408
	global_load_b64 v[6:7], v[6:7], off offset:408
	v_lshlrev_b32_e32 v18, 3, v26
	s_clause 0x3
	global_load_b64 v[8:9], v39, s[4:5] offset:408
	global_load_b64 v[10:11], v10, s[4:5] offset:408
	;; [unrolled: 1-line block ×4, first 2 shown]
	ds_load_u16 v27, v21
	ds_load_u16 v28, v21 offset:104
	ds_load_u16 v29, v21 offset:208
	;; [unrolled: 1-line block ×23, first 2 shown]
	v_lshl_add_u32 v12, v12, 1, 0
	v_lshl_add_u32 v25, v25, 1, 0
	;; [unrolled: 1-line block ×3, first 2 shown]
	global_wb scope:SCOPE_SE
	s_wait_loadcnt_dscnt 0x0
	s_barrier_signal -1
	s_barrier_wait -1
	global_inv scope:SCOPE_SE
	v_lshrrev_b32_e32 v71, 16, v4
	v_lshrrev_b32_e32 v72, 16, v5
	;; [unrolled: 1-line block ×12, first 2 shown]
	v_mul_f16_e32 v87, v37, v71
	v_mul_f16_e32 v88, v54, v71
	;; [unrolled: 1-line block ×32, first 2 shown]
	v_fmac_f16_e32 v87, v54, v4
	v_fma_f16 v37, v37, v4, -v88
	v_fmac_f16_e32 v89, v62, v5
	v_fma_f16 v48, v48, v5, -v90
	;; [unrolled: 2-line block ×6, first 2 shown]
	v_fmac_f16_e32 v97, v57, v6
	v_fmac_f16_e32 v98, v65, v7
	;; [unrolled: 1-line block ×10, first 2 shown]
	v_fma_f16 v6, v41, v6, -v73
	v_fma_f16 v7, v66, v7, -v74
	;; [unrolled: 1-line block ×10, first 2 shown]
	v_add_f16_e32 v41, v87, v89
	v_sub_f16_e32 v43, v37, v48
	v_add_f16_e32 v44, v27, v37
	v_add_f16_e32 v37, v37, v48
	v_add_f16_e32 v53, v91, v93
	v_sub_f16_e32 v54, v38, v49
	v_add_f16_e32 v55, v28, v38
	v_add_f16_e32 v38, v38, v49
	;; [unrolled: 4-line block ×3, first 2 shown]
	v_add_f16_e32 v63, v97, v98
	v_add_f16_e32 v68, v99, v100
	;; [unrolled: 1-line block ×6, first 2 shown]
	v_sub_f16_e32 v64, v6, v7
	v_add_f16_e32 v65, v32, v6
	v_add_f16_e32 v6, v6, v7
	v_sub_f16_e32 v69, v8, v9
	v_add_f16_e32 v70, v33, v8
	v_add_f16_e32 v8, v8, v9
	;; [unrolled: 3-line block ×5, first 2 shown]
	v_sub_f16_e32 v45, v87, v89
	v_fmac_f16_e32 v30, -0.5, v41
	v_fmac_f16_e32 v27, -0.5, v37
	v_add_f16_e32 v46, v31, v91
	v_sub_f16_e32 v56, v91, v93
	v_fmac_f16_e32 v31, -0.5, v53
	v_fmac_f16_e32 v28, -0.5, v38
	v_add_f16_e32 v57, v40, v95
	v_sub_f16_e32 v61, v95, v96
	v_add_f16_e32 v62, v42, v97
	v_add_f16_e32 v67, v47, v99
	;; [unrolled: 1-line block ×5, first 2 shown]
	v_fmac_f16_e32 v40, -0.5, v58
	v_fmac_f16_e32 v29, -0.5, v4
	;; [unrolled: 1-line block ×7, first 2 shown]
	v_sub_f16_e32 v66, v97, v98
	v_sub_f16_e32 v71, v99, v100
	;; [unrolled: 1-line block ×5, first 2 shown]
	v_add_f16_e32 v39, v39, v89
	v_add_f16_e32 v41, v44, v48
	v_fmac_f16_e32 v32, -0.5, v6
	v_fmac_f16_e32 v33, -0.5, v8
	;; [unrolled: 1-line block ×5, first 2 shown]
	v_fmamk_f16 v18, v43, 0xbaee, v30
	v_fmac_f16_e32 v30, 0x3aee, v43
	v_fmamk_f16 v43, v45, 0x3aee, v27
	v_add_f16_e32 v37, v46, v93
	v_add_f16_e32 v44, v55, v49
	v_fmac_f16_e32 v27, 0xbaee, v45
	v_fmamk_f16 v45, v54, 0xbaee, v31
	v_fmamk_f16 v46, v56, 0x3aee, v28
	v_add_f16_e32 v38, v57, v96
	v_add_f16_e32 v5, v60, v5
	;; [unrolled: 1-line block ×11, first 2 shown]
	v_fmac_f16_e32 v31, 0x3aee, v54
	v_fmamk_f16 v48, v59, 0xbaee, v40
	v_fmac_f16_e32 v40, 0x3aee, v59
	v_fmamk_f16 v49, v61, 0x3aee, v29
	;; [unrolled: 2-line block ×7, first 2 shown]
	v_fmac_f16_e32 v52, 0x3aee, v84
	v_add_f16_e32 v19, v85, v19
	v_fmac_f16_e32 v28, 0xbaee, v56
	v_fmamk_f16 v54, v66, 0x3aee, v32
	v_fmac_f16_e32 v32, 0xbaee, v66
	v_fmamk_f16 v56, v71, 0x3aee, v33
	;; [unrolled: 2-line block ×5, first 2 shown]
	v_fmac_f16_e32 v36, 0xbaee, v86
	ds_store_b16 v21, v39
	ds_store_b16 v21, v18 offset:208
	ds_store_b16 v21, v37 offset:104
	;; [unrolled: 1-line block ×23, first 2 shown]
	global_wb scope:SCOPE_SE
	s_wait_dscnt 0x0
	s_barrier_signal -1
	s_barrier_wait -1
	global_inv scope:SCOPE_SE
	ds_load_u16 v4, v21 offset:1352
	ds_load_u16 v6, v21 offset:1456
	;; [unrolled: 1-line block ×3, first 2 shown]
	ds_load_u16 v10, v21
	ds_load_u16 v16, v21 offset:104
	ds_load_u16 v18, v21 offset:208
	;; [unrolled: 1-line block ×20, first 2 shown]
	global_wb scope:SCOPE_SE
	s_wait_dscnt 0x0
	s_barrier_signal -1
	s_barrier_wait -1
	global_inv scope:SCOPE_SE
	ds_store_b16 v21, v41
	ds_store_b16 v21, v43 offset:208
	ds_store_b16 v21, v44 offset:104
	;; [unrolled: 1-line block ×23, first 2 shown]
	global_wb scope:SCOPE_SE
	s_wait_dscnt 0x0
	s_barrier_signal -1
	s_barrier_wait -1
	global_inv scope:SCOPE_SE
	s_clause 0x5
	global_load_b32 v5, v[2:3], off offset:1240
	global_load_b32 v7, v[2:3], off offset:1448
	;; [unrolled: 1-line block ×6, first 2 shown]
	ds_load_u16 v19, v21 offset:1352
	ds_load_u16 v24, v21 offset:1456
	;; [unrolled: 1-line block ×3, first 2 shown]
	ds_load_u16 v26, v21
	ds_load_u16 v27, v21 offset:104
	ds_load_u16 v28, v21 offset:208
	;; [unrolled: 1-line block ×20, first 2 shown]
	global_wb scope:SCOPE_SE
	s_wait_loadcnt_dscnt 0x0
	s_barrier_signal -1
	s_barrier_wait -1
	global_inv scope:SCOPE_SE
	v_lshrrev_b32_e32 v65, 16, v5
	v_lshrrev_b32_e32 v66, 16, v7
	;; [unrolled: 1-line block ×6, first 2 shown]
	v_mul_f16_e32 v71, v44, v65
	v_mul_f16_e32 v73, v19, v66
	;; [unrolled: 1-line block ×22, first 2 shown]
	v_fmac_f16_e32 v71, v47, v5
	v_fmac_f16_e32 v73, v4, v7
	v_mul_f16_e32 v70, v61, v70
	v_fma_f16 v4, v19, v7, -v74
	v_fmac_f16_e32 v75, v6, v9
	v_fma_f16 v44, v44, v5, -v72
	v_fma_f16 v6, v24, v9, -v76
	v_fmac_f16_e32 v77, v8, v11
	v_fma_f16 v8, v25, v11, -v78
	v_fmac_f16_e32 v79, v50, v12
	;; [unrolled: 2-line block ×8, first 2 shown]
	v_fmac_f16_e32 v88, v61, v17
	v_sub_f16_e32 v25, v10, v71
	v_sub_f16_e32 v47, v16, v73
	v_fma_f16 v17, v64, v17, -v70
	v_sub_f16_e32 v49, v27, v4
	v_sub_f16_e32 v4, v18, v75
	v_mul_f16_e32 v69, v59, v69
	v_sub_f16_e32 v44, v26, v44
	v_sub_f16_e32 v50, v28, v6
	;; [unrolled: 1-line block ×18, first 2 shown]
	v_fma_f16 v10, v10, 2.0, -v25
	v_fma_f16 v16, v16, 2.0, -v47
	v_sub_f16_e32 v59, v46, v17
	v_fma_f16 v17, v18, 2.0, -v4
	v_fma_f16 v12, v63, v12, -v69
	v_fma_f16 v60, v26, 2.0, -v44
	v_fma_f16 v61, v27, 2.0, -v49
	;; [unrolled: 1-line block ×17, first 2 shown]
	ds_store_b16 v21, v47 offset:728
	ds_store_b16 v21, v10
	ds_store_b16 v21, v16 offset:104
	ds_store_b16 v21, v17 offset:208
	;; [unrolled: 1-line block ×22, first 2 shown]
	global_wb scope:SCOPE_SE
	s_wait_dscnt 0x0
	s_barrier_signal -1
	s_barrier_wait -1
	global_inv scope:SCOPE_SE
	ds_load_u16 v24, v21 offset:1352
	ds_load_u16 v25, v21 offset:1456
	;; [unrolled: 1-line block ×3, first 2 shown]
	ds_load_u16 v4, v21
	ds_load_u16 v5, v21 offset:104
	ds_load_u16 v6, v21 offset:208
	;; [unrolled: 1-line block ×20, first 2 shown]
	v_sub_f16_e32 v12, v43, v12
	v_fma_f16 v36, v36, 2.0, -v56
	v_fma_f16 v40, v41, 2.0, -v57
	v_fma_f16 v42, v46, 2.0, -v59
	global_wb scope:SCOPE_SE
	s_wait_dscnt 0x0
	v_fma_f16 v41, v43, 2.0, -v12
	s_barrier_signal -1
	s_barrier_wait -1
	global_inv scope:SCOPE_SE
	ds_store_b16 v21, v49 offset:728
	ds_store_b16 v21, v60
	ds_store_b16 v21, v61 offset:104
	ds_store_b16 v21, v62 offset:208
	;; [unrolled: 1-line block ×22, first 2 shown]
	global_wb scope:SCOPE_SE
	s_wait_dscnt 0x0
	s_barrier_signal -1
	s_barrier_wait -1
	global_inv scope:SCOPE_SE
	s_and_saveexec_b32 s0, vcc_lo
	s_cbranch_execz .LBB0_21
; %bb.20:
	s_clause 0xb
	global_load_b32 v36, v[2:3], off offset:4776
	global_load_b32 v37, v[2:3], off offset:4568
	;; [unrolled: 1-line block ×12, first 2 shown]
	v_lshrrev_b32_e32 v2, 4, v23
	v_lshrrev_b32_e32 v3, 4, v22
	ds_load_u16 v48, v21 offset:1560
	ds_load_u16 v49, v21 offset:1456
	;; [unrolled: 1-line block ×4, first 2 shown]
	v_lshrrev_b32_e32 v12, 4, v20
	ds_load_u16 v23, v21 offset:1144
	ds_load_u16 v52, v21 offset:1040
	;; [unrolled: 1-line block ×4, first 2 shown]
	v_mul_hi_u32 v2, 0x1a41a41b, v2
	v_mul_hi_u32 v3, 0x1a41a41b, v3
	ds_load_u16 v20, v21 offset:2392
	ds_load_u16 v22, v21 offset:2288
	;; [unrolled: 1-line block ×8, first 2 shown]
	v_mul_hi_u32 v61, 0x1a41a41b, v12
	ds_load_u16 v62, v21 offset:728
	ds_load_u16 v63, v21 offset:624
	;; [unrolled: 1-line block ×7, first 2 shown]
	ds_load_u16 v21, v21
	v_add_co_u32 v14, vcc_lo, s8, v14
	s_wait_alu 0xfffd
	v_add_co_ci_u32_e32 v15, vcc_lo, s9, v15, vcc_lo
	v_lshrrev_b32_e32 v2, 2, v2
	v_lshrrev_b32_e32 v69, 2, v3
	;; [unrolled: 1-line block ×3, first 2 shown]
	v_add_co_u32 v0, vcc_lo, v14, v0
	s_delay_alu instid0(VALU_DEP_4) | instskip(SKIP_2) | instid1(VALU_DEP_2)
	v_mul_u32_u24_e32 v12, 0x270, v2
	s_wait_alu 0xfffd
	v_add_co_ci_u32_e32 v1, vcc_lo, v15, v1, vcc_lo
	v_lshlrev_b64_e32 v[2:3], 2, v[12:13]
	v_mul_u32_u24_e32 v12, 0x270, v69
	s_delay_alu instid0(VALU_DEP_1) | instskip(SKIP_1) | instid1(VALU_DEP_4)
	v_lshlrev_b64_e32 v[14:15], 2, v[12:13]
	v_mul_u32_u24_e32 v12, 0x270, v61
	v_add_co_u32 v2, vcc_lo, v0, v2
	s_wait_alu 0xfffd
	v_add_co_ci_u32_e32 v3, vcc_lo, v1, v3, vcc_lo
	s_delay_alu instid0(VALU_DEP_3) | instskip(SKIP_3) | instid1(VALU_DEP_3)
	v_lshlrev_b64_e32 v[12:13], 2, v[12:13]
	v_add_co_u32 v14, vcc_lo, v0, v14
	s_wait_alu 0xfffd
	v_add_co_ci_u32_e32 v15, vcc_lo, v1, v15, vcc_lo
	v_add_co_u32 v12, vcc_lo, v0, v12
	s_wait_alu 0xfffd
	v_add_co_ci_u32_e32 v13, vcc_lo, v1, v13, vcc_lo
	s_wait_loadcnt 0xb
	v_lshrrev_b32_e32 v61, 16, v36
	s_wait_loadcnt 0xa
	v_lshrrev_b32_e32 v69, 16, v37
	;; [unrolled: 2-line block ×12, first 2 shown]
	s_wait_dscnt 0xc
	v_mul_f16_e32 v83, v71, v56
	v_mul_f16_e32 v71, v32, v71
	;; [unrolled: 1-line block ×14, first 2 shown]
	s_wait_dscnt 0x8
	v_mul_f16_e32 v87, v75, v60
	v_mul_f16_e32 v75, v28, v75
	;; [unrolled: 1-line block ×10, first 2 shown]
	v_fmac_f16_e32 v91, v27, v47
	v_fma_f16 v27, v47, v51, -v79
	v_fmac_f16_e32 v90, v24, v46
	v_fma_f16 v24, v46, v50, -v78
	;; [unrolled: 2-line block ×6, first 2 shown]
	v_fma_f16 v22, v37, v22, -v69
	v_fmac_f16_e32 v87, v28, v43
	v_fma_f16 v28, v43, v60, -v75
	v_fmac_f16_e32 v80, v35, v36
	;; [unrolled: 2-line block ×3, first 2 shown]
	v_fmac_f16_e32 v84, v31, v40
	v_fma_f16 v31, v40, v57, -v72
	v_fmac_f16_e32 v85, v30, v41
	v_fma_f16 v30, v41, v58, -v73
	v_fmac_f16_e32 v86, v29, v42
	v_fma_f16 v29, v42, v59, -v74
	v_sub_f16_e32 v45, v4, v91
	s_wait_dscnt 0x0
	v_sub_f16_e32 v27, v21, v27
	v_sub_f16_e32 v44, v5, v90
	;; [unrolled: 1-line block ×23, first 2 shown]
	v_fma_f16 v4, v4, 2.0, -v45
	v_fma_f16 v21, v21, 2.0, -v27
	;; [unrolled: 1-line block ×24, first 2 shown]
	v_pack_b32_f16 v24, v44, v24
	v_pack_b32_f16 v31, v38, v31
	;; [unrolled: 1-line block ×19, first 2 shown]
	s_clause 0x5
	global_store_b32 v[0:1], v24, off offset:2704
	global_store_b32 v[0:1], v25, off offset:2912
	;; [unrolled: 1-line block ×6, first 2 shown]
	v_pack_b32_f16 v11, v11, v49
	v_pack_b32_f16 v16, v16, v48
	;; [unrolled: 1-line block ×3, first 2 shown]
	s_clause 0x2
	global_store_b32 v[0:1], v31, off offset:3952
	global_store_b32 v[0:1], v32, off offset:4160
	global_store_b32 v[2:3], v33, off offset:4368
	v_pack_b32_f16 v18, v18, v46
	v_pack_b32_f16 v19, v19, v23
	s_clause 0xe
	global_store_b32 v[0:1], v4, off
	global_store_b32 v[0:1], v5, off offset:208
	global_store_b32 v[0:1], v6, off offset:416
	;; [unrolled: 1-line block ×14, first 2 shown]
.LBB0_21:
	s_nop 0
	s_sendmsg sendmsg(MSG_DEALLOC_VGPRS)
	s_endpgm
	.section	.rodata,"a",@progbits
	.p2align	6, 0x0
	.amdhsa_kernel fft_rtc_back_len1248_factors_2_2_13_2_3_2_2_wgs_52_tpt_52_halfLds_half_ip_CI_unitstride_sbrr_dirReg
		.amdhsa_group_segment_fixed_size 0
		.amdhsa_private_segment_fixed_size 0
		.amdhsa_kernarg_size 88
		.amdhsa_user_sgpr_count 2
		.amdhsa_user_sgpr_dispatch_ptr 0
		.amdhsa_user_sgpr_queue_ptr 0
		.amdhsa_user_sgpr_kernarg_segment_ptr 1
		.amdhsa_user_sgpr_dispatch_id 0
		.amdhsa_user_sgpr_private_segment_size 0
		.amdhsa_wavefront_size32 1
		.amdhsa_uses_dynamic_stack 0
		.amdhsa_enable_private_segment 0
		.amdhsa_system_sgpr_workgroup_id_x 1
		.amdhsa_system_sgpr_workgroup_id_y 0
		.amdhsa_system_sgpr_workgroup_id_z 0
		.amdhsa_system_sgpr_workgroup_info 0
		.amdhsa_system_vgpr_workitem_id 0
		.amdhsa_next_free_vgpr 145
		.amdhsa_next_free_sgpr 32
		.amdhsa_reserve_vcc 1
		.amdhsa_float_round_mode_32 0
		.amdhsa_float_round_mode_16_64 0
		.amdhsa_float_denorm_mode_32 3
		.amdhsa_float_denorm_mode_16_64 3
		.amdhsa_fp16_overflow 0
		.amdhsa_workgroup_processor_mode 1
		.amdhsa_memory_ordered 1
		.amdhsa_forward_progress 0
		.amdhsa_round_robin_scheduling 0
		.amdhsa_exception_fp_ieee_invalid_op 0
		.amdhsa_exception_fp_denorm_src 0
		.amdhsa_exception_fp_ieee_div_zero 0
		.amdhsa_exception_fp_ieee_overflow 0
		.amdhsa_exception_fp_ieee_underflow 0
		.amdhsa_exception_fp_ieee_inexact 0
		.amdhsa_exception_int_div_zero 0
	.end_amdhsa_kernel
	.text
.Lfunc_end0:
	.size	fft_rtc_back_len1248_factors_2_2_13_2_3_2_2_wgs_52_tpt_52_halfLds_half_ip_CI_unitstride_sbrr_dirReg, .Lfunc_end0-fft_rtc_back_len1248_factors_2_2_13_2_3_2_2_wgs_52_tpt_52_halfLds_half_ip_CI_unitstride_sbrr_dirReg
                                        ; -- End function
	.section	.AMDGPU.csdata,"",@progbits
; Kernel info:
; codeLenInByte = 19516
; NumSgprs: 34
; NumVgprs: 145
; ScratchSize: 0
; MemoryBound: 0
; FloatMode: 240
; IeeeMode: 1
; LDSByteSize: 0 bytes/workgroup (compile time only)
; SGPRBlocks: 4
; VGPRBlocks: 18
; NumSGPRsForWavesPerEU: 34
; NumVGPRsForWavesPerEU: 145
; Occupancy: 9
; WaveLimiterHint : 1
; COMPUTE_PGM_RSRC2:SCRATCH_EN: 0
; COMPUTE_PGM_RSRC2:USER_SGPR: 2
; COMPUTE_PGM_RSRC2:TRAP_HANDLER: 0
; COMPUTE_PGM_RSRC2:TGID_X_EN: 1
; COMPUTE_PGM_RSRC2:TGID_Y_EN: 0
; COMPUTE_PGM_RSRC2:TGID_Z_EN: 0
; COMPUTE_PGM_RSRC2:TIDIG_COMP_CNT: 0
	.text
	.p2alignl 7, 3214868480
	.fill 96, 4, 3214868480
	.type	__hip_cuid_fbb1c2b2c52ccd20,@object ; @__hip_cuid_fbb1c2b2c52ccd20
	.section	.bss,"aw",@nobits
	.globl	__hip_cuid_fbb1c2b2c52ccd20
__hip_cuid_fbb1c2b2c52ccd20:
	.byte	0                               ; 0x0
	.size	__hip_cuid_fbb1c2b2c52ccd20, 1

	.ident	"AMD clang version 19.0.0git (https://github.com/RadeonOpenCompute/llvm-project roc-6.4.0 25133 c7fe45cf4b819c5991fe208aaa96edf142730f1d)"
	.section	".note.GNU-stack","",@progbits
	.addrsig
	.addrsig_sym __hip_cuid_fbb1c2b2c52ccd20
	.amdgpu_metadata
---
amdhsa.kernels:
  - .args:
      - .actual_access:  read_only
        .address_space:  global
        .offset:         0
        .size:           8
        .value_kind:     global_buffer
      - .offset:         8
        .size:           8
        .value_kind:     by_value
      - .actual_access:  read_only
        .address_space:  global
        .offset:         16
        .size:           8
        .value_kind:     global_buffer
      - .actual_access:  read_only
        .address_space:  global
        .offset:         24
        .size:           8
        .value_kind:     global_buffer
      - .offset:         32
        .size:           8
        .value_kind:     by_value
      - .actual_access:  read_only
        .address_space:  global
        .offset:         40
        .size:           8
        .value_kind:     global_buffer
      - .actual_access:  read_only
        .address_space:  global
        .offset:         48
        .size:           8
        .value_kind:     global_buffer
      - .offset:         56
        .size:           4
        .value_kind:     by_value
      - .actual_access:  read_only
        .address_space:  global
        .offset:         64
        .size:           8
        .value_kind:     global_buffer
      - .actual_access:  read_only
        .address_space:  global
        .offset:         72
        .size:           8
        .value_kind:     global_buffer
      - .address_space:  global
        .offset:         80
        .size:           8
        .value_kind:     global_buffer
    .group_segment_fixed_size: 0
    .kernarg_segment_align: 8
    .kernarg_segment_size: 88
    .language:       OpenCL C
    .language_version:
      - 2
      - 0
    .max_flat_workgroup_size: 52
    .name:           fft_rtc_back_len1248_factors_2_2_13_2_3_2_2_wgs_52_tpt_52_halfLds_half_ip_CI_unitstride_sbrr_dirReg
    .private_segment_fixed_size: 0
    .sgpr_count:     34
    .sgpr_spill_count: 0
    .symbol:         fft_rtc_back_len1248_factors_2_2_13_2_3_2_2_wgs_52_tpt_52_halfLds_half_ip_CI_unitstride_sbrr_dirReg.kd
    .uniform_work_group_size: 1
    .uses_dynamic_stack: false
    .vgpr_count:     145
    .vgpr_spill_count: 0
    .wavefront_size: 32
    .workgroup_processor_mode: 1
amdhsa.target:   amdgcn-amd-amdhsa--gfx1201
amdhsa.version:
  - 1
  - 2
...

	.end_amdgpu_metadata
